;; amdgpu-corpus repo=pytorch/pytorch kind=compiled arch=gfx942 opt=O3
	.text
	.amdgcn_target "amdgcn-amd-amdhsa--gfx942"
	.amdhsa_code_object_version 6
	.section	.text._ZN7rocprim17ROCPRIM_304000_NS6detail28radix_sort_block_sort_kernelINS1_36wrapped_radix_sort_block_sort_configINS0_13kernel_configILj256ELj4ELj4294967295EEE12hip_bfloat16N2at4cuda3cub6detail10OpaqueTypeILi8EEEEELb1EPKS6_PS6_PKSC_PSC_NS0_19identity_decomposerEEEvT1_T2_T3_T4_jT5_jj,"axG",@progbits,_ZN7rocprim17ROCPRIM_304000_NS6detail28radix_sort_block_sort_kernelINS1_36wrapped_radix_sort_block_sort_configINS0_13kernel_configILj256ELj4ELj4294967295EEE12hip_bfloat16N2at4cuda3cub6detail10OpaqueTypeILi8EEEEELb1EPKS6_PS6_PKSC_PSC_NS0_19identity_decomposerEEEvT1_T2_T3_T4_jT5_jj,comdat
	.protected	_ZN7rocprim17ROCPRIM_304000_NS6detail28radix_sort_block_sort_kernelINS1_36wrapped_radix_sort_block_sort_configINS0_13kernel_configILj256ELj4ELj4294967295EEE12hip_bfloat16N2at4cuda3cub6detail10OpaqueTypeILi8EEEEELb1EPKS6_PS6_PKSC_PSC_NS0_19identity_decomposerEEEvT1_T2_T3_T4_jT5_jj ; -- Begin function _ZN7rocprim17ROCPRIM_304000_NS6detail28radix_sort_block_sort_kernelINS1_36wrapped_radix_sort_block_sort_configINS0_13kernel_configILj256ELj4ELj4294967295EEE12hip_bfloat16N2at4cuda3cub6detail10OpaqueTypeILi8EEEEELb1EPKS6_PS6_PKSC_PSC_NS0_19identity_decomposerEEEvT1_T2_T3_T4_jT5_jj
	.globl	_ZN7rocprim17ROCPRIM_304000_NS6detail28radix_sort_block_sort_kernelINS1_36wrapped_radix_sort_block_sort_configINS0_13kernel_configILj256ELj4ELj4294967295EEE12hip_bfloat16N2at4cuda3cub6detail10OpaqueTypeILi8EEEEELb1EPKS6_PS6_PKSC_PSC_NS0_19identity_decomposerEEEvT1_T2_T3_T4_jT5_jj
	.p2align	8
	.type	_ZN7rocprim17ROCPRIM_304000_NS6detail28radix_sort_block_sort_kernelINS1_36wrapped_radix_sort_block_sort_configINS0_13kernel_configILj256ELj4ELj4294967295EEE12hip_bfloat16N2at4cuda3cub6detail10OpaqueTypeILi8EEEEELb1EPKS6_PS6_PKSC_PSC_NS0_19identity_decomposerEEEvT1_T2_T3_T4_jT5_jj,@function
_ZN7rocprim17ROCPRIM_304000_NS6detail28radix_sort_block_sort_kernelINS1_36wrapped_radix_sort_block_sort_configINS0_13kernel_configILj256ELj4ELj4294967295EEE12hip_bfloat16N2at4cuda3cub6detail10OpaqueTypeILi8EEEEELb1EPKS6_PS6_PKSC_PSC_NS0_19identity_decomposerEEEvT1_T2_T3_T4_jT5_jj: ; @_ZN7rocprim17ROCPRIM_304000_NS6detail28radix_sort_block_sort_kernelINS1_36wrapped_radix_sort_block_sort_configINS0_13kernel_configILj256ELj4ELj4294967295EEE12hip_bfloat16N2at4cuda3cub6detail10OpaqueTypeILi8EEEEELb1EPKS6_PS6_PKSC_PSC_NS0_19identity_decomposerEEEvT1_T2_T3_T4_jT5_jj
; %bb.0:
	s_load_dword s4, s[0:1], 0x20
	s_load_dwordx8 s[36:43], s[0:1], 0x0
	s_lshl_b32 s28, s2, 10
	s_mov_b32 s29, 0
	v_and_b32_e32 v8, 0x3ff, v0
	s_waitcnt lgkmcnt(0)
	s_lshr_b32 s3, s4, 10
	s_cmp_lg_u32 s2, s3
	s_cselect_b64 s[30:31], -1, 0
	s_lshl_b64 s[34:35], s[28:29], 1
	v_mbcnt_lo_u32_b32 v1, -1, 0
	s_add_u32 s6, s36, s34
	v_mbcnt_hi_u32_b32 v1, -1, v1
	v_lshlrev_b32_e32 v12, 2, v8
	s_addc_u32 s7, s37, s35
	v_and_b32_e32 v13, 0x300, v12
	v_mov_b32_e32 v5, 0
	v_lshlrev_b32_e32 v4, 1, v1
	v_lshl_add_u64 v[2:3], s[6:7], 0, v[4:5]
	v_lshlrev_b32_e32 v4, 1, v13
	s_cmp_eq_u32 s2, s3
	v_lshl_add_u64 v[10:11], v[2:3], 0, v[4:5]
	v_lshlrev_b32_e32 v4, 3, v1
	v_lshlrev_b32_e32 v6, 3, v13
	v_add_u32_e32 v9, v1, v13
	s_cbranch_scc1 .LBB0_2
; %bb.1:
	s_lshl_b64 s[2:3], s[28:29], 3
	s_add_u32 s2, s40, s2
	s_addc_u32 s3, s41, s3
	v_lshl_add_u64 v[2:3], s[2:3], 0, v[4:5]
	v_mov_b32_e32 v7, v5
	v_lshl_add_u64 v[16:17], v[2:3], 0, v[6:7]
	global_load_ushort v15, v[10:11], off
	global_load_ushort v14, v[10:11], off offset:128
	global_load_ushort v19, v[10:11], off offset:256
	;; [unrolled: 1-line block ×3, first 2 shown]
	global_load_dwordx2 v[2:3], v[16:17], off
	global_load_dwordx2 v[20:21], v[16:17], off offset:512
	global_load_dwordx2 v[22:23], v[16:17], off offset:1024
	;; [unrolled: 1-line block ×3, first 2 shown]
	v_add_u32_e32 v5, v1, v13
	v_add_u32_e32 v13, 64, v5
	;; [unrolled: 1-line block ×4, first 2 shown]
	s_sub_i32 s33, s4, s28
	s_cbranch_execz .LBB0_3
	s_branch .LBB0_17
.LBB0_2:
                                        ; implicit-def: $vgpr2_vgpr3
                                        ; implicit-def: $vgpr20_vgpr21
                                        ; implicit-def: $vgpr22_vgpr23
                                        ; implicit-def: $vgpr24_vgpr25
                                        ; implicit-def: $vgpr15
                                        ; implicit-def: $vgpr14
                                        ; implicit-def: $vgpr19
                                        ; implicit-def: $vgpr18
                                        ; implicit-def: $vgpr5
                                        ; implicit-def: $vgpr13
                                        ; implicit-def: $vgpr16
                                        ; implicit-def: $vgpr17
	s_sub_i32 s33, s4, s28
.LBB0_3:
	v_cmp_gt_u32_e32 vcc, s33, v9
	s_waitcnt vmcnt(6)
	v_mov_b32_e32 v14, -1
	v_mov_b32_e32 v15, -1
	s_and_saveexec_b64 s[2:3], vcc
	s_cbranch_execz .LBB0_5
; %bb.4:
	global_load_ushort v15, v[10:11], off
.LBB0_5:
	s_or_b64 exec, exec, s[2:3]
	v_add_u32_e32 v13, 64, v9
	v_cmp_gt_u32_e64 s[2:3], s33, v13
	s_and_saveexec_b64 s[4:5], s[2:3]
	s_cbranch_execz .LBB0_7
; %bb.6:
	global_load_ushort v14, v[10:11], off offset:128
.LBB0_7:
	s_or_b64 exec, exec, s[4:5]
	v_add_u32_e32 v16, 0x80, v9
	v_cmp_gt_u32_e64 s[4:5], s33, v16
	s_waitcnt vmcnt(4)
	v_mov_b32_e32 v18, -1
	v_mov_b32_e32 v19, -1
	s_and_saveexec_b64 s[6:7], s[4:5]
	s_cbranch_execz .LBB0_9
; %bb.8:
	global_load_ushort v19, v[10:11], off offset:256
.LBB0_9:
	s_or_b64 exec, exec, s[6:7]
	v_add_u32_e32 v17, 0xc0, v9
	v_cmp_gt_u32_e64 s[6:7], s33, v17
	s_and_saveexec_b64 s[8:9], s[6:7]
	s_cbranch_execz .LBB0_11
; %bb.10:
	global_load_ushort v18, v[10:11], off offset:384
.LBB0_11:
	s_or_b64 exec, exec, s[8:9]
	s_lshl_b64 s[8:9], s[28:29], 3
	s_add_u32 s8, s40, s8
	s_addc_u32 s9, s41, s9
	v_mov_b32_e32 v5, 0
	s_waitcnt vmcnt(3)
	v_lshl_add_u64 v[2:3], s[8:9], 0, v[4:5]
	v_mov_b32_e32 v7, v5
	v_lshl_add_u64 v[4:5], v[2:3], 0, v[6:7]
                                        ; implicit-def: $vgpr2_vgpr3
	s_and_saveexec_b64 s[8:9], vcc
	s_cbranch_execnz .LBB0_54
; %bb.12:
	s_or_b64 exec, exec, s[8:9]
                                        ; implicit-def: $vgpr20_vgpr21
	s_and_saveexec_b64 s[8:9], s[2:3]
	s_cbranch_execnz .LBB0_55
.LBB0_13:
	s_or_b64 exec, exec, s[8:9]
                                        ; implicit-def: $vgpr22_vgpr23
	s_and_saveexec_b64 s[2:3], s[4:5]
	s_cbranch_execnz .LBB0_56
.LBB0_14:
	s_or_b64 exec, exec, s[2:3]
                                        ; implicit-def: $vgpr24_vgpr25
	s_and_saveexec_b64 s[2:3], s[6:7]
	s_cbranch_execz .LBB0_16
.LBB0_15:
	global_load_dwordx2 v[24:25], v[4:5], off offset:1536
.LBB0_16:
	s_or_b64 exec, exec, s[2:3]
	v_mov_b32_e32 v5, v9
.LBB0_17:
	s_load_dwordx2 s[36:37], s[0:1], 0x28
	v_mov_b32_e32 v9, 0x7fff
	s_load_dword s0, s[0:1], 0x3c
	s_waitcnt vmcnt(0)
	v_cmp_gt_i16_e32 vcc, 0, v15
	s_mov_b32 s26, 0
	v_cmp_lt_u32_e64 s[10:11], 31, v1
	v_cndmask_b32_e64 v4, v9, 0, vcc
	v_cmp_gt_i16_e32 vcc, 0, v14
	v_xor_b32_e32 v46, v4, v15
	s_waitcnt lgkmcnt(0)
	s_lshr_b32 s1, s0, 16
	v_cndmask_b32_e64 v4, v9, 0, vcc
	v_cmp_gt_i16_e32 vcc, 0, v19
	v_xor_b32_e32 v47, v4, v14
	s_and_b32 s0, s0, 0xffff
	v_cndmask_b32_e64 v4, v9, 0, vcc
	v_cmp_gt_i16_e32 vcc, 0, v18
	v_xor_b32_e32 v48, v4, v19
	v_cmp_eq_u32_e64 s[18:19], 0, v1
	v_cndmask_b32_e64 v4, v9, 0, vcc
	v_xor_b32_e32 v49, v4, v18
	v_bfe_u32 v4, v0, 10, 10
	v_bfe_u32 v0, v0, 20, 10
	v_mad_u32_u24 v0, v0, s1, v4
	v_mad_u64_u32 v[6:7], s[0:1], v0, s0, v[8:9]
	v_and_b32_e32 v0, 15, v1
	v_cmp_eq_u32_e64 s[0:1], 0, v0
	v_cmp_lt_u32_e64 s[2:3], 1, v0
	v_cmp_lt_u32_e64 s[4:5], 3, v0
	;; [unrolled: 1-line block ×3, first 2 shown]
	v_and_b32_e32 v0, 16, v1
	v_cmp_eq_u32_e64 s[8:9], 0, v0
	v_and_b32_e32 v0, 0x3c0, v8
	v_min_u32_e32 v0, 0xc0, v0
	v_or_b32_e32 v0, 63, v0
	v_cmp_eq_u32_e64 s[12:13], v0, v8
	v_add_u32_e32 v0, -1, v1
	v_and_b32_e32 v4, 64, v1
	v_cmp_lt_i32_e32 vcc, v0, v4
	v_lshlrev_b32_e32 v27, 2, v12
	v_lshrrev_b32_e32 v29, 6, v6
	v_cndmask_b32_e32 v0, v0, v1, vcc
	v_lshlrev_b32_e32 v30, 2, v0
	v_lshrrev_b32_e32 v0, 4, v8
	v_and_b32_e32 v1, 3, v1
	v_and_b32_e32 v31, 60, v0
	v_mul_i32_i24_e32 v0, -12, v8
	v_cmp_eq_u32_e64 s[22:23], 0, v1
	v_cmp_lt_u32_e64 s[24:25], 1, v1
	v_lshlrev_b32_e32 v33, 1, v5
	v_lshlrev_b32_e32 v34, 1, v13
	;; [unrolled: 1-line block ×4, first 2 shown]
	v_mul_lo_u32 v1, v5, 6
	v_mul_lo_u32 v4, v13, 6
	;; [unrolled: 1-line block ×4, first 2 shown]
	s_mov_b32 s27, s26
	s_mov_b32 s44, s26
	;; [unrolled: 1-line block ×3, first 2 shown]
	s_add_i32 s40, s37, s36
	v_cmp_gt_u32_e64 s[14:15], 4, v8
	v_cmp_lt_u32_e64 s[16:17], 63, v8
	v_cmp_eq_u32_e64 s[20:21], 0, v8
	v_add_u32_e32 v32, -4, v31
	v_mov_b64_e32 v[14:15], s[26:27]
	v_mov_b64_e32 v[16:17], s[44:45]
	s_movk_i32 s41, 0x8000
	v_add_u32_e32 v37, v27, v0
	v_add_u32_e32 v38, v33, v1
	;; [unrolled: 1-line block ×5, first 2 shown]
	v_mov_b32_e32 v19, 0
	s_branch .LBB0_19
.LBB0_18:                               ;   in Loop: Header=BB0_19 Depth=1
	v_mad_u64_u32 v[2:3], s[26:27], v52, 6, v[28:29]
	s_barrier
	ds_write_b16 v28, v45
	ds_write_b16 v26, v44
	;; [unrolled: 1-line block ×4, first 2 shown]
	s_waitcnt lgkmcnt(0)
	s_barrier
	ds_read_u16 v46, v33
	ds_read_u16 v47, v34
	ds_read_u16 v48, v35
	ds_read_u16 v49, v36
	s_waitcnt lgkmcnt(0)
	s_barrier
	ds_write_b64 v2, v[12:13]
	v_mad_u64_u32 v[2:3], s[26:27], v51, 6, v[26:27]
	ds_write_b64 v2, v[10:11]
	v_mad_u64_u32 v[2:3], s[26:27], v50, 6, v[18:19]
	;; [unrolled: 2-line block ×3, first 2 shown]
	ds_write_b64 v2, v[4:5]
	s_waitcnt lgkmcnt(0)
	s_barrier
	ds_read_b64 v[2:3], v38
	ds_read_b64 v[20:21], v39
	;; [unrolled: 1-line block ×4, first 2 shown]
	s_add_i32 s37, s37, -8
	s_waitcnt lgkmcnt(0)
	s_barrier
	s_cbranch_execz .LBB0_35
.LBB0_19:                               ; =>This Inner Loop Header: Depth=1
	v_mov_b32_e32 v45, v46
	s_min_u32 s26, s37, 8
	v_cmp_ne_u16_e32 vcc, s41, v45
	s_lshl_b32 s26, -1, s26
	s_not_b32 s44, s26
	v_cndmask_b32_e32 v0, v9, v45, vcc
	v_lshrrev_b32_sdwa v0, s36, v0 dst_sel:DWORD dst_unused:UNUSED_PAD src0_sel:DWORD src1_sel:WORD_0
	v_mov_b64_e32 v[12:13], v[2:3]
	v_and_b32_e32 v2, s44, v0
	v_lshl_add_u32 v0, v2, 2, v29
	v_and_b32_e32 v18, 1, v2
	v_mov_b64_e32 v[10:11], v[20:21]
	v_lshl_add_u32 v20, v0, 2, 16
	v_lshl_add_u64 v[0:1], v[18:19], 0, -1
	v_cmp_ne_u32_e32 vcc, 0, v18
	v_mov_b64_e32 v[6:7], v[22:23]
	v_mov_b64_e32 v[4:5], v[24:25]
	v_xor_b32_e32 v1, vcc_hi, v1
	v_xor_b32_e32 v0, vcc_lo, v0
	v_and_b32_e32 v3, exec_hi, v1
	v_and_b32_e32 v18, exec_lo, v0
	v_lshlrev_b32_e32 v1, 30, v2
	v_mov_b32_e32 v0, v19
	v_cmp_gt_i64_e32 vcc, 0, v[0:1]
	v_not_b32_e32 v0, v1
	v_ashrrev_i32_e32 v0, 31, v0
	v_xor_b32_e32 v1, vcc_hi, v0
	v_xor_b32_e32 v0, vcc_lo, v0
	v_and_b32_e32 v3, v3, v1
	v_and_b32_e32 v18, v18, v0
	v_lshlrev_b32_e32 v1, 29, v2
	v_mov_b32_e32 v0, v19
	v_cmp_gt_i64_e32 vcc, 0, v[0:1]
	v_not_b32_e32 v0, v1
	v_ashrrev_i32_e32 v0, 31, v0
	v_xor_b32_e32 v1, vcc_hi, v0
	v_xor_b32_e32 v0, vcc_lo, v0
	v_and_b32_e32 v3, v3, v1
	v_and_b32_e32 v18, v18, v0
	;; [unrolled: 9-line block ×7, first 2 shown]
	v_mbcnt_lo_u32_b32 v2, v0, 0
	v_mbcnt_hi_u32_b32 v21, v1, v2
	v_cmp_eq_u32_e32 vcc, 0, v21
	v_cmp_ne_u64_e64 s[26:27], 0, v[0:1]
	v_mov_b32_e32 v44, v47
	v_mov_b32_e32 v43, v48
	;; [unrolled: 1-line block ×3, first 2 shown]
	s_and_b64 s[46:47], s[26:27], vcc
	ds_write2_b64 v27, v[14:15], v[16:17] offset0:2 offset1:3
	s_waitcnt lgkmcnt(0)
	s_barrier
	s_waitcnt lgkmcnt(0)
	; wave barrier
	s_and_saveexec_b64 s[26:27], s[46:47]
	s_cbranch_execz .LBB0_21
; %bb.20:                               ;   in Loop: Header=BB0_19 Depth=1
	v_bcnt_u32_b32 v0, v0, 0
	v_bcnt_u32_b32 v0, v1, v0
	ds_write_b32 v20, v0
.LBB0_21:                               ;   in Loop: Header=BB0_19 Depth=1
	s_or_b64 exec, exec, s[26:27]
	v_cmp_ne_u16_e32 vcc, s41, v44
	; wave barrier
	s_nop 1
	v_cndmask_b32_e32 v0, v9, v44, vcc
	v_lshrrev_b32_sdwa v0, s36, v0 dst_sel:DWORD dst_unused:UNUSED_PAD src0_sel:DWORD src1_sel:WORD_0
	v_and_b32_e32 v2, s44, v0
	v_lshlrev_b32_e32 v0, 2, v2
	v_add_lshl_u32 v0, v0, v29, 2
	v_and_b32_e32 v18, 1, v2
	v_add_u32_e32 v23, 16, v0
	ds_read_b32 v22, v0 offset:16
	v_lshl_add_u64 v[0:1], v[18:19], 0, -1
	v_cmp_ne_u32_e32 vcc, 0, v18
	; wave barrier
	s_nop 1
	v_xor_b32_e32 v1, vcc_hi, v1
	v_xor_b32_e32 v0, vcc_lo, v0
	v_and_b32_e32 v3, exec_hi, v1
	v_and_b32_e32 v18, exec_lo, v0
	v_lshlrev_b32_e32 v1, 30, v2
	v_mov_b32_e32 v0, v19
	v_cmp_gt_i64_e32 vcc, 0, v[0:1]
	v_not_b32_e32 v0, v1
	v_ashrrev_i32_e32 v0, 31, v0
	v_xor_b32_e32 v1, vcc_hi, v0
	v_xor_b32_e32 v0, vcc_lo, v0
	v_and_b32_e32 v3, v3, v1
	v_and_b32_e32 v18, v18, v0
	v_lshlrev_b32_e32 v1, 29, v2
	v_mov_b32_e32 v0, v19
	v_cmp_gt_i64_e32 vcc, 0, v[0:1]
	v_not_b32_e32 v0, v1
	v_ashrrev_i32_e32 v0, 31, v0
	v_xor_b32_e32 v1, vcc_hi, v0
	v_xor_b32_e32 v0, vcc_lo, v0
	v_and_b32_e32 v3, v3, v1
	v_and_b32_e32 v18, v18, v0
	;; [unrolled: 9-line block ×7, first 2 shown]
	v_mbcnt_lo_u32_b32 v2, v0, 0
	v_mbcnt_hi_u32_b32 v24, v1, v2
	v_cmp_eq_u32_e32 vcc, 0, v24
	v_cmp_ne_u64_e64 s[26:27], 0, v[0:1]
	s_and_b64 s[46:47], s[26:27], vcc
	s_and_saveexec_b64 s[26:27], s[46:47]
	s_cbranch_execz .LBB0_23
; %bb.22:                               ;   in Loop: Header=BB0_19 Depth=1
	v_bcnt_u32_b32 v0, v0, 0
	v_bcnt_u32_b32 v0, v1, v0
	s_waitcnt lgkmcnt(0)
	v_add_u32_e32 v0, v22, v0
	ds_write_b32 v23, v0
.LBB0_23:                               ;   in Loop: Header=BB0_19 Depth=1
	s_or_b64 exec, exec, s[26:27]
	v_cmp_ne_u16_e32 vcc, s41, v43
	; wave barrier
	s_nop 1
	v_cndmask_b32_e32 v0, v9, v43, vcc
	v_lshrrev_b32_sdwa v0, s36, v0 dst_sel:DWORD dst_unused:UNUSED_PAD src0_sel:DWORD src1_sel:WORD_0
	v_and_b32_e32 v2, s44, v0
	v_lshlrev_b32_e32 v0, 2, v2
	v_add_lshl_u32 v0, v0, v29, 2
	v_and_b32_e32 v18, 1, v2
	v_add_u32_e32 v26, 16, v0
	ds_read_b32 v25, v0 offset:16
	v_lshl_add_u64 v[0:1], v[18:19], 0, -1
	v_cmp_ne_u32_e32 vcc, 0, v18
	; wave barrier
	s_nop 1
	v_xor_b32_e32 v1, vcc_hi, v1
	v_xor_b32_e32 v0, vcc_lo, v0
	v_and_b32_e32 v3, exec_hi, v1
	v_and_b32_e32 v18, exec_lo, v0
	v_lshlrev_b32_e32 v1, 30, v2
	v_mov_b32_e32 v0, v19
	v_cmp_gt_i64_e32 vcc, 0, v[0:1]
	v_not_b32_e32 v0, v1
	v_ashrrev_i32_e32 v0, 31, v0
	v_xor_b32_e32 v1, vcc_hi, v0
	v_xor_b32_e32 v0, vcc_lo, v0
	v_and_b32_e32 v3, v3, v1
	v_and_b32_e32 v18, v18, v0
	v_lshlrev_b32_e32 v1, 29, v2
	v_mov_b32_e32 v0, v19
	v_cmp_gt_i64_e32 vcc, 0, v[0:1]
	v_not_b32_e32 v0, v1
	v_ashrrev_i32_e32 v0, 31, v0
	v_xor_b32_e32 v1, vcc_hi, v0
	v_xor_b32_e32 v0, vcc_lo, v0
	v_and_b32_e32 v3, v3, v1
	v_and_b32_e32 v18, v18, v0
	;; [unrolled: 9-line block ×7, first 2 shown]
	v_mbcnt_lo_u32_b32 v2, v0, 0
	v_mbcnt_hi_u32_b32 v28, v1, v2
	v_cmp_eq_u32_e32 vcc, 0, v28
	v_cmp_ne_u64_e64 s[26:27], 0, v[0:1]
	s_and_b64 s[46:47], s[26:27], vcc
	s_and_saveexec_b64 s[26:27], s[46:47]
	s_cbranch_execz .LBB0_25
; %bb.24:                               ;   in Loop: Header=BB0_19 Depth=1
	v_bcnt_u32_b32 v0, v0, 0
	v_bcnt_u32_b32 v0, v1, v0
	s_waitcnt lgkmcnt(0)
	v_add_u32_e32 v0, v25, v0
	ds_write_b32 v26, v0
.LBB0_25:                               ;   in Loop: Header=BB0_19 Depth=1
	s_or_b64 exec, exec, s[26:27]
	v_cmp_ne_u16_e32 vcc, s41, v42
	; wave barrier
	s_nop 1
	v_cndmask_b32_e32 v0, v9, v42, vcc
	v_lshrrev_b32_sdwa v0, s36, v0 dst_sel:DWORD dst_unused:UNUSED_PAD src0_sel:DWORD src1_sel:WORD_0
	v_and_b32_e32 v2, s44, v0
	v_lshlrev_b32_e32 v0, 2, v2
	v_add_lshl_u32 v0, v0, v29, 2
	v_and_b32_e32 v18, 1, v2
	v_add_u32_e32 v47, 16, v0
	ds_read_b32 v46, v0 offset:16
	v_lshl_add_u64 v[0:1], v[18:19], 0, -1
	v_cmp_ne_u32_e32 vcc, 0, v18
	; wave barrier
	s_nop 1
	v_xor_b32_e32 v1, vcc_hi, v1
	v_xor_b32_e32 v0, vcc_lo, v0
	v_and_b32_e32 v3, exec_hi, v1
	v_and_b32_e32 v18, exec_lo, v0
	v_lshlrev_b32_e32 v1, 30, v2
	v_mov_b32_e32 v0, v19
	v_cmp_gt_i64_e32 vcc, 0, v[0:1]
	v_not_b32_e32 v0, v1
	v_ashrrev_i32_e32 v0, 31, v0
	v_xor_b32_e32 v1, vcc_hi, v0
	v_xor_b32_e32 v0, vcc_lo, v0
	v_and_b32_e32 v3, v3, v1
	v_and_b32_e32 v18, v18, v0
	v_lshlrev_b32_e32 v1, 29, v2
	v_mov_b32_e32 v0, v19
	v_cmp_gt_i64_e32 vcc, 0, v[0:1]
	v_not_b32_e32 v0, v1
	v_ashrrev_i32_e32 v0, 31, v0
	v_xor_b32_e32 v1, vcc_hi, v0
	v_xor_b32_e32 v0, vcc_lo, v0
	v_and_b32_e32 v3, v3, v1
	v_and_b32_e32 v18, v18, v0
	;; [unrolled: 9-line block ×7, first 2 shown]
	v_mbcnt_lo_u32_b32 v2, v0, 0
	v_mbcnt_hi_u32_b32 v18, v1, v2
	v_cmp_eq_u32_e32 vcc, 0, v18
	v_cmp_ne_u64_e64 s[26:27], 0, v[0:1]
	s_and_b64 s[44:45], s[26:27], vcc
	s_and_saveexec_b64 s[26:27], s[44:45]
	s_cbranch_execz .LBB0_27
; %bb.26:                               ;   in Loop: Header=BB0_19 Depth=1
	v_bcnt_u32_b32 v0, v0, 0
	v_bcnt_u32_b32 v0, v1, v0
	s_waitcnt lgkmcnt(0)
	v_add_u32_e32 v0, v46, v0
	ds_write_b32 v47, v0
.LBB0_27:                               ;   in Loop: Header=BB0_19 Depth=1
	s_or_b64 exec, exec, s[26:27]
	; wave barrier
	s_waitcnt lgkmcnt(0)
	s_barrier
	ds_read2_b64 v[0:3], v27 offset0:2 offset1:3
	s_waitcnt lgkmcnt(0)
	v_add_u32_e32 v48, v1, v0
	v_add3_u32 v3, v48, v2, v3
	s_nop 1
	v_mov_b32_dpp v48, v3 row_shr:1 row_mask:0xf bank_mask:0xf
	v_cndmask_b32_e64 v48, v48, 0, s[0:1]
	v_add_u32_e32 v3, v48, v3
	s_nop 1
	v_mov_b32_dpp v48, v3 row_shr:2 row_mask:0xf bank_mask:0xf
	v_cndmask_b32_e64 v48, 0, v48, s[2:3]
	v_add_u32_e32 v3, v3, v48
	;; [unrolled: 4-line block ×4, first 2 shown]
	s_nop 1
	v_mov_b32_dpp v48, v3 row_bcast:15 row_mask:0xf bank_mask:0xf
	v_cndmask_b32_e64 v48, v48, 0, s[8:9]
	v_add_u32_e32 v3, v3, v48
	s_nop 1
	v_mov_b32_dpp v48, v3 row_bcast:31 row_mask:0xf bank_mask:0xf
	v_cndmask_b32_e64 v48, 0, v48, s[10:11]
	v_add_u32_e32 v3, v3, v48
	s_and_saveexec_b64 s[26:27], s[12:13]
	s_cbranch_execz .LBB0_29
; %bb.28:                               ;   in Loop: Header=BB0_19 Depth=1
	ds_write_b32 v31, v3
.LBB0_29:                               ;   in Loop: Header=BB0_19 Depth=1
	s_or_b64 exec, exec, s[26:27]
	s_waitcnt lgkmcnt(0)
	s_barrier
	s_and_saveexec_b64 s[26:27], s[14:15]
	s_cbranch_execz .LBB0_31
; %bb.30:                               ;   in Loop: Header=BB0_19 Depth=1
	ds_read_b32 v48, v37
	s_waitcnt lgkmcnt(0)
	s_nop 0
	v_mov_b32_dpp v49, v48 row_shr:1 row_mask:0xf bank_mask:0xf
	v_cndmask_b32_e64 v49, v49, 0, s[22:23]
	v_add_u32_e32 v48, v49, v48
	s_nop 1
	v_mov_b32_dpp v49, v48 row_shr:2 row_mask:0xf bank_mask:0xf
	v_cndmask_b32_e64 v49, 0, v49, s[24:25]
	v_add_u32_e32 v48, v48, v49
	ds_write_b32 v37, v48
.LBB0_31:                               ;   in Loop: Header=BB0_19 Depth=1
	s_or_b64 exec, exec, s[26:27]
	v_mov_b32_e32 v48, 0
	s_waitcnt lgkmcnt(0)
	s_barrier
	s_and_saveexec_b64 s[26:27], s[16:17]
	s_cbranch_execz .LBB0_33
; %bb.32:                               ;   in Loop: Header=BB0_19 Depth=1
	ds_read_b32 v48, v32
.LBB0_33:                               ;   in Loop: Header=BB0_19 Depth=1
	s_or_b64 exec, exec, s[26:27]
	s_waitcnt lgkmcnt(0)
	v_add_u32_e32 v3, v48, v3
	ds_bpermute_b32 v3, v30, v3
	s_add_i32 s36, s36, 8
	s_cmp_ge_u32 s36, s40
	s_waitcnt lgkmcnt(0)
	v_cndmask_b32_e64 v3, v3, v48, s[18:19]
	v_cndmask_b32_e64 v48, v3, 0, s[20:21]
	v_add_u32_e32 v49, v48, v0
	v_add_u32_e32 v0, v49, v1
	;; [unrolled: 1-line block ×3, first 2 shown]
	ds_write2_b64 v27, v[48:49], v[0:1] offset0:2 offset1:3
	s_waitcnt lgkmcnt(0)
	s_barrier
	ds_read_b32 v0, v20
	ds_read_b32 v1, v23
	;; [unrolled: 1-line block ×4, first 2 shown]
	s_waitcnt lgkmcnt(0)
	v_add_u32_e32 v52, v0, v21
	v_add3_u32 v51, v24, v22, v1
	v_add3_u32 v50, v28, v25, v2
	;; [unrolled: 1-line block ×3, first 2 shown]
	v_lshlrev_b32_e32 v28, 1, v52
	v_lshlrev_b32_e32 v26, 1, v51
	;; [unrolled: 1-line block ×4, first 2 shown]
	s_cbranch_scc0 .LBB0_18
; %bb.34:
                                        ; implicit-def: $sgpr36
                                        ; implicit-def: $vgpr2_vgpr3
                                        ; implicit-def: $vgpr20_vgpr21
                                        ; implicit-def: $vgpr22_vgpr23
                                        ; implicit-def: $vgpr24_vgpr25
                                        ; implicit-def: $vgpr46
                                        ; implicit-def: $vgpr47
                                        ; implicit-def: $vgpr48
                                        ; implicit-def: $vgpr49
.LBB0_35:
	v_lshlrev_b32_e32 v14, 1, v8
	s_barrier
	ds_write_b16 v28, v45
	ds_write_b16 v26, v44
	;; [unrolled: 1-line block ×4, first 2 shown]
	s_waitcnt lgkmcnt(0)
	s_barrier
	ds_read_u16 v9, v14
	ds_read_u16 v15, v14 offset:512
	ds_read_u16 v17, v14 offset:1024
	ds_read_u16 v19, v14 offset:1536
	v_mad_u64_u32 v[2:3], s[0:1], v52, 6, v[28:29]
	s_waitcnt lgkmcnt(0)
	s_barrier
	ds_write_b64 v2, v[12:13]
	v_mad_u64_u32 v[2:3], s[0:1], v51, 6, v[26:27]
	ds_write_b64 v2, v[10:11]
	v_mad_u64_u32 v[2:3], s[0:1], v50, 6, v[18:19]
	v_mad_u64_u32 v[0:1], s[0:1], v1, 6, v[0:1]
	ds_write_b64 v2, v[6:7]
	ds_write_b64 v0, v[4:5]
	v_mad_u32_u24 v0, v8, 6, v14
	v_mov_b32_e32 v10, 0x7fff
	v_cmp_gt_i16_e32 vcc, 0, v9
	s_waitcnt lgkmcnt(0)
	s_barrier
	ds_read2st64_b64 v[4:7], v0 offset1:4
	ds_read2st64_b64 v[0:3], v0 offset0:8 offset1:12
	v_cndmask_b32_e64 v11, v10, 0, vcc
	v_cmp_gt_i16_e32 vcc, 0, v15
	v_xor_b32_e32 v16, v11, v9
	s_add_u32 s0, s38, s34
	v_cndmask_b32_e64 v9, v10, 0, vcc
	v_cmp_gt_i16_e32 vcc, 0, v17
	v_xor_b32_e32 v13, v9, v15
	s_addc_u32 s1, s39, s35
	v_cndmask_b32_e64 v9, v10, 0, vcc
	v_cmp_gt_i16_e32 vcc, 0, v19
	v_xor_b32_e32 v12, v9, v17
	v_mov_b32_e32 v15, 0
	v_cndmask_b32_e64 v9, v10, 0, vcc
	v_xor_b32_e32 v9, v9, v19
	v_lshl_add_u64 v[10:11], s[0:1], 0, v[14:15]
	s_andn2_b64 vcc, exec, s[30:31]
	v_lshlrev_b32_e32 v14, 3, v8
	s_cbranch_vccnz .LBB0_37
; %bb.36:
	s_lshl_b64 s[0:1], s[28:29], 3
	s_add_u32 s0, s42, s0
	s_addc_u32 s1, s43, s1
	v_lshl_add_u64 v[18:19], s[0:1], 0, v[14:15]
	v_add_co_u32_e32 v18, vcc, 0x1000, v18
	global_store_short v[10:11], v16, off
	global_store_short v[10:11], v13, off offset:512
	global_store_short v[10:11], v12, off offset:1024
	;; [unrolled: 1-line block ×3, first 2 shown]
	s_waitcnt lgkmcnt(1)
	global_store_dwordx2 v14, v[4:5], s[0:1]
	global_store_dwordx2 v14, v[6:7], s[0:1] offset:2048
	v_addc_co_u32_e32 v19, vcc, 0, v19, vcc
	s_mov_b64 s[4:5], -1
	s_waitcnt lgkmcnt(0)
	global_store_dwordx2 v[18:19], v[0:1], off
	s_cbranch_execz .LBB0_38
	s_branch .LBB0_51
.LBB0_37:
	s_mov_b64 s[4:5], 0
.LBB0_38:
	v_cmp_gt_u32_e32 vcc, s33, v8
	s_and_saveexec_b64 s[0:1], vcc
	s_cbranch_execz .LBB0_40
; %bb.39:
	global_store_short v[10:11], v16, off
.LBB0_40:
	s_or_b64 exec, exec, s[0:1]
	v_add_u32_e32 v15, 0x100, v8
	v_cmp_gt_u32_e64 s[0:1], s33, v15
	s_and_saveexec_b64 s[2:3], s[0:1]
	s_cbranch_execz .LBB0_42
; %bb.41:
	global_store_short v[10:11], v13, off offset:512
.LBB0_42:
	s_or_b64 exec, exec, s[2:3]
	v_add_u32_e32 v13, 0x200, v8
	v_cmp_gt_u32_e64 s[2:3], s33, v13
	s_and_saveexec_b64 s[4:5], s[2:3]
	s_cbranch_execz .LBB0_44
; %bb.43:
	global_store_short v[10:11], v12, off offset:1024
.LBB0_44:
	;; [unrolled: 8-line block ×3, first 2 shown]
	s_or_b64 exec, exec, s[6:7]
	s_lshl_b64 s[6:7], s[28:29], 3
	s_add_u32 s6, s42, s6
	s_addc_u32 s7, s43, s7
	v_mov_b32_e32 v15, 0
	v_lshl_add_u64 v[8:9], s[6:7], 0, v[14:15]
	s_and_saveexec_b64 s[6:7], vcc
	s_cbranch_execnz .LBB0_57
; %bb.47:
	s_or_b64 exec, exec, s[6:7]
	s_and_saveexec_b64 s[6:7], s[0:1]
	s_cbranch_execnz .LBB0_58
.LBB0_48:
	s_or_b64 exec, exec, s[6:7]
	s_and_saveexec_b64 s[0:1], s[2:3]
	s_cbranch_execz .LBB0_50
.LBB0_49:
	s_waitcnt lgkmcnt(1)
	v_add_co_u32_e32 v4, vcc, 0x1000, v8
	s_nop 1
	v_addc_co_u32_e32 v5, vcc, 0, v9, vcc
	s_waitcnt lgkmcnt(0)
	global_store_dwordx2 v[4:5], v[0:1], off
.LBB0_50:
	s_or_b64 exec, exec, s[0:1]
.LBB0_51:
	s_and_saveexec_b64 s[0:1], s[4:5]
	s_cbranch_execnz .LBB0_53
; %bb.52:
	s_endpgm
.LBB0_53:
	s_lshl_b64 s[0:1], s[28:29], 3
	s_add_u32 s0, s42, s0
	s_addc_u32 s1, s43, s1
	v_mov_b32_e32 v15, 0
	s_waitcnt lgkmcnt(0)
	v_lshl_add_u64 v[0:1], s[0:1], 0, v[14:15]
	v_add_co_u32_e32 v0, vcc, 0x1000, v0
	s_nop 1
	v_addc_co_u32_e32 v1, vcc, 0, v1, vcc
	global_store_dwordx2 v[0:1], v[2:3], off offset:2048
	s_endpgm
.LBB0_54:
	global_load_dwordx2 v[2:3], v[4:5], off
	s_or_b64 exec, exec, s[8:9]
                                        ; implicit-def: $vgpr20_vgpr21
	s_and_saveexec_b64 s[8:9], s[2:3]
	s_cbranch_execz .LBB0_13
.LBB0_55:
	global_load_dwordx2 v[20:21], v[4:5], off offset:512
	s_or_b64 exec, exec, s[8:9]
                                        ; implicit-def: $vgpr22_vgpr23
	s_and_saveexec_b64 s[2:3], s[4:5]
	s_cbranch_execz .LBB0_14
.LBB0_56:
	global_load_dwordx2 v[22:23], v[4:5], off offset:1024
	s_or_b64 exec, exec, s[2:3]
                                        ; implicit-def: $vgpr24_vgpr25
	s_and_saveexec_b64 s[2:3], s[6:7]
	s_cbranch_execnz .LBB0_15
	s_branch .LBB0_16
.LBB0_57:
	s_waitcnt lgkmcnt(1)
	global_store_dwordx2 v[8:9], v[4:5], off
	s_or_b64 exec, exec, s[6:7]
	s_and_saveexec_b64 s[6:7], s[0:1]
	s_cbranch_execz .LBB0_48
.LBB0_58:
	s_waitcnt lgkmcnt(1)
	global_store_dwordx2 v[8:9], v[6:7], off offset:2048
	s_or_b64 exec, exec, s[6:7]
	s_and_saveexec_b64 s[0:1], s[2:3]
	s_cbranch_execnz .LBB0_49
	s_branch .LBB0_50
	.section	.rodata,"a",@progbits
	.p2align	6, 0x0
	.amdhsa_kernel _ZN7rocprim17ROCPRIM_304000_NS6detail28radix_sort_block_sort_kernelINS1_36wrapped_radix_sort_block_sort_configINS0_13kernel_configILj256ELj4ELj4294967295EEE12hip_bfloat16N2at4cuda3cub6detail10OpaqueTypeILi8EEEEELb1EPKS6_PS6_PKSC_PSC_NS0_19identity_decomposerEEEvT1_T2_T3_T4_jT5_jj
		.amdhsa_group_segment_fixed_size 8192
		.amdhsa_private_segment_fixed_size 0
		.amdhsa_kernarg_size 304
		.amdhsa_user_sgpr_count 2
		.amdhsa_user_sgpr_dispatch_ptr 0
		.amdhsa_user_sgpr_queue_ptr 0
		.amdhsa_user_sgpr_kernarg_segment_ptr 1
		.amdhsa_user_sgpr_dispatch_id 0
		.amdhsa_user_sgpr_kernarg_preload_length 0
		.amdhsa_user_sgpr_kernarg_preload_offset 0
		.amdhsa_user_sgpr_private_segment_size 0
		.amdhsa_uses_dynamic_stack 0
		.amdhsa_enable_private_segment 0
		.amdhsa_system_sgpr_workgroup_id_x 1
		.amdhsa_system_sgpr_workgroup_id_y 0
		.amdhsa_system_sgpr_workgroup_id_z 0
		.amdhsa_system_sgpr_workgroup_info 0
		.amdhsa_system_vgpr_workitem_id 2
		.amdhsa_next_free_vgpr 53
		.amdhsa_next_free_sgpr 48
		.amdhsa_accum_offset 56
		.amdhsa_reserve_vcc 1
		.amdhsa_float_round_mode_32 0
		.amdhsa_float_round_mode_16_64 0
		.amdhsa_float_denorm_mode_32 3
		.amdhsa_float_denorm_mode_16_64 3
		.amdhsa_dx10_clamp 1
		.amdhsa_ieee_mode 1
		.amdhsa_fp16_overflow 0
		.amdhsa_tg_split 0
		.amdhsa_exception_fp_ieee_invalid_op 0
		.amdhsa_exception_fp_denorm_src 0
		.amdhsa_exception_fp_ieee_div_zero 0
		.amdhsa_exception_fp_ieee_overflow 0
		.amdhsa_exception_fp_ieee_underflow 0
		.amdhsa_exception_fp_ieee_inexact 0
		.amdhsa_exception_int_div_zero 0
	.end_amdhsa_kernel
	.section	.text._ZN7rocprim17ROCPRIM_304000_NS6detail28radix_sort_block_sort_kernelINS1_36wrapped_radix_sort_block_sort_configINS0_13kernel_configILj256ELj4ELj4294967295EEE12hip_bfloat16N2at4cuda3cub6detail10OpaqueTypeILi8EEEEELb1EPKS6_PS6_PKSC_PSC_NS0_19identity_decomposerEEEvT1_T2_T3_T4_jT5_jj,"axG",@progbits,_ZN7rocprim17ROCPRIM_304000_NS6detail28radix_sort_block_sort_kernelINS1_36wrapped_radix_sort_block_sort_configINS0_13kernel_configILj256ELj4ELj4294967295EEE12hip_bfloat16N2at4cuda3cub6detail10OpaqueTypeILi8EEEEELb1EPKS6_PS6_PKSC_PSC_NS0_19identity_decomposerEEEvT1_T2_T3_T4_jT5_jj,comdat
.Lfunc_end0:
	.size	_ZN7rocprim17ROCPRIM_304000_NS6detail28radix_sort_block_sort_kernelINS1_36wrapped_radix_sort_block_sort_configINS0_13kernel_configILj256ELj4ELj4294967295EEE12hip_bfloat16N2at4cuda3cub6detail10OpaqueTypeILi8EEEEELb1EPKS6_PS6_PKSC_PSC_NS0_19identity_decomposerEEEvT1_T2_T3_T4_jT5_jj, .Lfunc_end0-_ZN7rocprim17ROCPRIM_304000_NS6detail28radix_sort_block_sort_kernelINS1_36wrapped_radix_sort_block_sort_configINS0_13kernel_configILj256ELj4ELj4294967295EEE12hip_bfloat16N2at4cuda3cub6detail10OpaqueTypeILi8EEEEELb1EPKS6_PS6_PKSC_PSC_NS0_19identity_decomposerEEEvT1_T2_T3_T4_jT5_jj
                                        ; -- End function
	.section	.AMDGPU.csdata,"",@progbits
; Kernel info:
; codeLenInByte = 4124
; NumSgprs: 54
; NumVgprs: 53
; NumAgprs: 0
; TotalNumVgprs: 53
; ScratchSize: 0
; MemoryBound: 0
; FloatMode: 240
; IeeeMode: 1
; LDSByteSize: 8192 bytes/workgroup (compile time only)
; SGPRBlocks: 6
; VGPRBlocks: 6
; NumSGPRsForWavesPerEU: 54
; NumVGPRsForWavesPerEU: 53
; AccumOffset: 56
; Occupancy: 8
; WaveLimiterHint : 1
; COMPUTE_PGM_RSRC2:SCRATCH_EN: 0
; COMPUTE_PGM_RSRC2:USER_SGPR: 2
; COMPUTE_PGM_RSRC2:TRAP_HANDLER: 0
; COMPUTE_PGM_RSRC2:TGID_X_EN: 1
; COMPUTE_PGM_RSRC2:TGID_Y_EN: 0
; COMPUTE_PGM_RSRC2:TGID_Z_EN: 0
; COMPUTE_PGM_RSRC2:TIDIG_COMP_CNT: 2
; COMPUTE_PGM_RSRC3_GFX90A:ACCUM_OFFSET: 13
; COMPUTE_PGM_RSRC3_GFX90A:TG_SPLIT: 0
	.section	.text._ZN7rocprim17ROCPRIM_304000_NS6detail39device_merge_sort_compile_time_verifierINS1_36wrapped_merge_sort_block_sort_configINS1_28merge_sort_block_sort_configILj256ELj4ELNS0_20block_sort_algorithmE0EEE12hip_bfloat16N2at4cuda3cub6detail10OpaqueTypeILi8EEEEENS1_37wrapped_merge_sort_block_merge_configINS0_14default_configES7_SD_EEEEvv,"axG",@progbits,_ZN7rocprim17ROCPRIM_304000_NS6detail39device_merge_sort_compile_time_verifierINS1_36wrapped_merge_sort_block_sort_configINS1_28merge_sort_block_sort_configILj256ELj4ELNS0_20block_sort_algorithmE0EEE12hip_bfloat16N2at4cuda3cub6detail10OpaqueTypeILi8EEEEENS1_37wrapped_merge_sort_block_merge_configINS0_14default_configES7_SD_EEEEvv,comdat
	.protected	_ZN7rocprim17ROCPRIM_304000_NS6detail39device_merge_sort_compile_time_verifierINS1_36wrapped_merge_sort_block_sort_configINS1_28merge_sort_block_sort_configILj256ELj4ELNS0_20block_sort_algorithmE0EEE12hip_bfloat16N2at4cuda3cub6detail10OpaqueTypeILi8EEEEENS1_37wrapped_merge_sort_block_merge_configINS0_14default_configES7_SD_EEEEvv ; -- Begin function _ZN7rocprim17ROCPRIM_304000_NS6detail39device_merge_sort_compile_time_verifierINS1_36wrapped_merge_sort_block_sort_configINS1_28merge_sort_block_sort_configILj256ELj4ELNS0_20block_sort_algorithmE0EEE12hip_bfloat16N2at4cuda3cub6detail10OpaqueTypeILi8EEEEENS1_37wrapped_merge_sort_block_merge_configINS0_14default_configES7_SD_EEEEvv
	.globl	_ZN7rocprim17ROCPRIM_304000_NS6detail39device_merge_sort_compile_time_verifierINS1_36wrapped_merge_sort_block_sort_configINS1_28merge_sort_block_sort_configILj256ELj4ELNS0_20block_sort_algorithmE0EEE12hip_bfloat16N2at4cuda3cub6detail10OpaqueTypeILi8EEEEENS1_37wrapped_merge_sort_block_merge_configINS0_14default_configES7_SD_EEEEvv
	.p2align	8
	.type	_ZN7rocprim17ROCPRIM_304000_NS6detail39device_merge_sort_compile_time_verifierINS1_36wrapped_merge_sort_block_sort_configINS1_28merge_sort_block_sort_configILj256ELj4ELNS0_20block_sort_algorithmE0EEE12hip_bfloat16N2at4cuda3cub6detail10OpaqueTypeILi8EEEEENS1_37wrapped_merge_sort_block_merge_configINS0_14default_configES7_SD_EEEEvv,@function
_ZN7rocprim17ROCPRIM_304000_NS6detail39device_merge_sort_compile_time_verifierINS1_36wrapped_merge_sort_block_sort_configINS1_28merge_sort_block_sort_configILj256ELj4ELNS0_20block_sort_algorithmE0EEE12hip_bfloat16N2at4cuda3cub6detail10OpaqueTypeILi8EEEEENS1_37wrapped_merge_sort_block_merge_configINS0_14default_configES7_SD_EEEEvv: ; @_ZN7rocprim17ROCPRIM_304000_NS6detail39device_merge_sort_compile_time_verifierINS1_36wrapped_merge_sort_block_sort_configINS1_28merge_sort_block_sort_configILj256ELj4ELNS0_20block_sort_algorithmE0EEE12hip_bfloat16N2at4cuda3cub6detail10OpaqueTypeILi8EEEEENS1_37wrapped_merge_sort_block_merge_configINS0_14default_configES7_SD_EEEEvv
; %bb.0:
	s_endpgm
	.section	.rodata,"a",@progbits
	.p2align	6, 0x0
	.amdhsa_kernel _ZN7rocprim17ROCPRIM_304000_NS6detail39device_merge_sort_compile_time_verifierINS1_36wrapped_merge_sort_block_sort_configINS1_28merge_sort_block_sort_configILj256ELj4ELNS0_20block_sort_algorithmE0EEE12hip_bfloat16N2at4cuda3cub6detail10OpaqueTypeILi8EEEEENS1_37wrapped_merge_sort_block_merge_configINS0_14default_configES7_SD_EEEEvv
		.amdhsa_group_segment_fixed_size 0
		.amdhsa_private_segment_fixed_size 0
		.amdhsa_kernarg_size 0
		.amdhsa_user_sgpr_count 0
		.amdhsa_user_sgpr_dispatch_ptr 0
		.amdhsa_user_sgpr_queue_ptr 0
		.amdhsa_user_sgpr_kernarg_segment_ptr 0
		.amdhsa_user_sgpr_dispatch_id 0
		.amdhsa_user_sgpr_kernarg_preload_length 0
		.amdhsa_user_sgpr_kernarg_preload_offset 0
		.amdhsa_user_sgpr_private_segment_size 0
		.amdhsa_uses_dynamic_stack 0
		.amdhsa_enable_private_segment 0
		.amdhsa_system_sgpr_workgroup_id_x 1
		.amdhsa_system_sgpr_workgroup_id_y 0
		.amdhsa_system_sgpr_workgroup_id_z 0
		.amdhsa_system_sgpr_workgroup_info 0
		.amdhsa_system_vgpr_workitem_id 0
		.amdhsa_next_free_vgpr 1
		.amdhsa_next_free_sgpr 0
		.amdhsa_accum_offset 4
		.amdhsa_reserve_vcc 0
		.amdhsa_float_round_mode_32 0
		.amdhsa_float_round_mode_16_64 0
		.amdhsa_float_denorm_mode_32 3
		.amdhsa_float_denorm_mode_16_64 3
		.amdhsa_dx10_clamp 1
		.amdhsa_ieee_mode 1
		.amdhsa_fp16_overflow 0
		.amdhsa_tg_split 0
		.amdhsa_exception_fp_ieee_invalid_op 0
		.amdhsa_exception_fp_denorm_src 0
		.amdhsa_exception_fp_ieee_div_zero 0
		.amdhsa_exception_fp_ieee_overflow 0
		.amdhsa_exception_fp_ieee_underflow 0
		.amdhsa_exception_fp_ieee_inexact 0
		.amdhsa_exception_int_div_zero 0
	.end_amdhsa_kernel
	.section	.text._ZN7rocprim17ROCPRIM_304000_NS6detail39device_merge_sort_compile_time_verifierINS1_36wrapped_merge_sort_block_sort_configINS1_28merge_sort_block_sort_configILj256ELj4ELNS0_20block_sort_algorithmE0EEE12hip_bfloat16N2at4cuda3cub6detail10OpaqueTypeILi8EEEEENS1_37wrapped_merge_sort_block_merge_configINS0_14default_configES7_SD_EEEEvv,"axG",@progbits,_ZN7rocprim17ROCPRIM_304000_NS6detail39device_merge_sort_compile_time_verifierINS1_36wrapped_merge_sort_block_sort_configINS1_28merge_sort_block_sort_configILj256ELj4ELNS0_20block_sort_algorithmE0EEE12hip_bfloat16N2at4cuda3cub6detail10OpaqueTypeILi8EEEEENS1_37wrapped_merge_sort_block_merge_configINS0_14default_configES7_SD_EEEEvv,comdat
.Lfunc_end1:
	.size	_ZN7rocprim17ROCPRIM_304000_NS6detail39device_merge_sort_compile_time_verifierINS1_36wrapped_merge_sort_block_sort_configINS1_28merge_sort_block_sort_configILj256ELj4ELNS0_20block_sort_algorithmE0EEE12hip_bfloat16N2at4cuda3cub6detail10OpaqueTypeILi8EEEEENS1_37wrapped_merge_sort_block_merge_configINS0_14default_configES7_SD_EEEEvv, .Lfunc_end1-_ZN7rocprim17ROCPRIM_304000_NS6detail39device_merge_sort_compile_time_verifierINS1_36wrapped_merge_sort_block_sort_configINS1_28merge_sort_block_sort_configILj256ELj4ELNS0_20block_sort_algorithmE0EEE12hip_bfloat16N2at4cuda3cub6detail10OpaqueTypeILi8EEEEENS1_37wrapped_merge_sort_block_merge_configINS0_14default_configES7_SD_EEEEvv
                                        ; -- End function
	.section	.AMDGPU.csdata,"",@progbits
; Kernel info:
; codeLenInByte = 4
; NumSgprs: 6
; NumVgprs: 0
; NumAgprs: 0
; TotalNumVgprs: 0
; ScratchSize: 0
; MemoryBound: 0
; FloatMode: 240
; IeeeMode: 1
; LDSByteSize: 0 bytes/workgroup (compile time only)
; SGPRBlocks: 0
; VGPRBlocks: 0
; NumSGPRsForWavesPerEU: 6
; NumVGPRsForWavesPerEU: 1
; AccumOffset: 4
; Occupancy: 8
; WaveLimiterHint : 0
; COMPUTE_PGM_RSRC2:SCRATCH_EN: 0
; COMPUTE_PGM_RSRC2:USER_SGPR: 0
; COMPUTE_PGM_RSRC2:TRAP_HANDLER: 0
; COMPUTE_PGM_RSRC2:TGID_X_EN: 1
; COMPUTE_PGM_RSRC2:TGID_Y_EN: 0
; COMPUTE_PGM_RSRC2:TGID_Z_EN: 0
; COMPUTE_PGM_RSRC2:TIDIG_COMP_CNT: 0
; COMPUTE_PGM_RSRC3_GFX90A:ACCUM_OFFSET: 0
; COMPUTE_PGM_RSRC3_GFX90A:TG_SPLIT: 0
	.section	.text._ZN7rocprim17ROCPRIM_304000_NS6detail45device_block_merge_mergepath_partition_kernelINS1_37wrapped_merge_sort_block_merge_configINS0_14default_configE12hip_bfloat16N2at4cuda3cub6detail10OpaqueTypeILi8EEEEEPS5_jNS1_19radix_merge_compareILb1ELb0ES5_NS0_19identity_decomposerEEEEEvT0_T1_jPSI_T2_SI_,"axG",@progbits,_ZN7rocprim17ROCPRIM_304000_NS6detail45device_block_merge_mergepath_partition_kernelINS1_37wrapped_merge_sort_block_merge_configINS0_14default_configE12hip_bfloat16N2at4cuda3cub6detail10OpaqueTypeILi8EEEEEPS5_jNS1_19radix_merge_compareILb1ELb0ES5_NS0_19identity_decomposerEEEEEvT0_T1_jPSI_T2_SI_,comdat
	.protected	_ZN7rocprim17ROCPRIM_304000_NS6detail45device_block_merge_mergepath_partition_kernelINS1_37wrapped_merge_sort_block_merge_configINS0_14default_configE12hip_bfloat16N2at4cuda3cub6detail10OpaqueTypeILi8EEEEEPS5_jNS1_19radix_merge_compareILb1ELb0ES5_NS0_19identity_decomposerEEEEEvT0_T1_jPSI_T2_SI_ ; -- Begin function _ZN7rocprim17ROCPRIM_304000_NS6detail45device_block_merge_mergepath_partition_kernelINS1_37wrapped_merge_sort_block_merge_configINS0_14default_configE12hip_bfloat16N2at4cuda3cub6detail10OpaqueTypeILi8EEEEEPS5_jNS1_19radix_merge_compareILb1ELb0ES5_NS0_19identity_decomposerEEEEEvT0_T1_jPSI_T2_SI_
	.globl	_ZN7rocprim17ROCPRIM_304000_NS6detail45device_block_merge_mergepath_partition_kernelINS1_37wrapped_merge_sort_block_merge_configINS0_14default_configE12hip_bfloat16N2at4cuda3cub6detail10OpaqueTypeILi8EEEEEPS5_jNS1_19radix_merge_compareILb1ELb0ES5_NS0_19identity_decomposerEEEEEvT0_T1_jPSI_T2_SI_
	.p2align	8
	.type	_ZN7rocprim17ROCPRIM_304000_NS6detail45device_block_merge_mergepath_partition_kernelINS1_37wrapped_merge_sort_block_merge_configINS0_14default_configE12hip_bfloat16N2at4cuda3cub6detail10OpaqueTypeILi8EEEEEPS5_jNS1_19radix_merge_compareILb1ELb0ES5_NS0_19identity_decomposerEEEEEvT0_T1_jPSI_T2_SI_,@function
_ZN7rocprim17ROCPRIM_304000_NS6detail45device_block_merge_mergepath_partition_kernelINS1_37wrapped_merge_sort_block_merge_configINS0_14default_configE12hip_bfloat16N2at4cuda3cub6detail10OpaqueTypeILi8EEEEEPS5_jNS1_19radix_merge_compareILb1ELb0ES5_NS0_19identity_decomposerEEEEEvT0_T1_jPSI_T2_SI_: ; @_ZN7rocprim17ROCPRIM_304000_NS6detail45device_block_merge_mergepath_partition_kernelINS1_37wrapped_merge_sort_block_merge_configINS0_14default_configE12hip_bfloat16N2at4cuda3cub6detail10OpaqueTypeILi8EEEEEPS5_jNS1_19radix_merge_compareILb1ELb0ES5_NS0_19identity_decomposerEEEEEvT0_T1_jPSI_T2_SI_
; %bb.0:
	s_load_dwordx2 s[4:5], s[0:1], 0x8
	v_lshl_or_b32 v0, s2, 7, v0
	s_waitcnt lgkmcnt(0)
	v_cmp_gt_u32_e32 vcc, s5, v0
	s_and_saveexec_b64 s[2:3], vcc
	s_cbranch_execz .LBB2_6
; %bb.1:
	s_load_dword s2, s[0:1], 0x1c
	s_waitcnt lgkmcnt(0)
	s_lshr_b32 s3, s2, 9
	s_and_b32 s3, s3, 0x7ffffe
	s_add_i32 s5, s3, -1
	s_sub_i32 s3, 0, s3
	v_and_b32_e32 v1, s3, v0
	v_and_b32_e32 v2, s5, v0
	v_lshlrev_b32_e32 v1, 10, v1
	v_lshlrev_b32_e32 v3, 10, v2
	v_min_u32_e32 v2, s4, v1
	v_add_u32_e32 v1, s2, v1
	v_min_u32_e32 v4, s4, v1
	v_add_u32_e32 v1, s2, v4
	v_min_u32_e32 v1, s4, v1
	v_sub_u32_e32 v5, v1, v2
	v_min_u32_e32 v10, v5, v3
	v_sub_u32_e32 v3, v4, v2
	v_sub_u32_e32 v1, v1, v4
	v_sub_u32_e64 v1, v10, v1 clamp
	v_min_u32_e32 v11, v10, v3
	v_cmp_lt_u32_e32 vcc, v1, v11
	s_and_saveexec_b64 s[2:3], vcc
	s_cbranch_execz .LBB2_5
; %bb.2:
	s_load_dwordx2 s[6:7], s[0:1], 0x0
	v_mov_b32_e32 v5, 0
	v_mov_b32_e32 v3, v5
	s_mov_b64 s[4:5], 0
	s_waitcnt lgkmcnt(0)
	v_lshl_add_u64 v[6:7], v[2:3], 1, s[6:7]
	v_lshl_add_u64 v[8:9], v[4:5], 1, s[6:7]
	s_movk_i32 s6, 0x8000
	v_mov_b32_e32 v3, 0xffff8000
.LBB2_3:                                ; =>This Inner Loop Header: Depth=1
	v_add_u32_e32 v4, v11, v1
	v_lshrrev_b32_e32 v16, 1, v4
	v_and_b32_e32 v4, -2, v4
	v_mov_b32_e32 v13, v5
	v_xad_u32 v12, v16, -1, v10
	v_lshl_add_u64 v[14:15], v[6:7], 0, v[4:5]
	global_load_ushort v4, v[14:15], off
	v_lshl_add_u64 v[12:13], v[12:13], 1, v[8:9]
	global_load_ushort v12, v[12:13], off
	v_add_u32_e32 v13, 1, v16
	s_waitcnt vmcnt(1)
	v_cmp_ne_u16_e32 vcc, s6, v4
	s_nop 1
	v_cndmask_b32_e32 v4, 0, v4, vcc
	s_waitcnt vmcnt(0)
	v_cmp_ne_u16_e32 vcc, s6, v12
	s_nop 1
	v_cndmask_b32_e32 v12, 0, v12, vcc
	v_cmp_lt_i16_e32 vcc, -1, v4
	s_nop 1
	v_cndmask_b32_e32 v14, -1, v3, vcc
	v_cmp_lt_i16_e32 vcc, -1, v12
	v_xor_b32_e32 v4, v14, v4
	s_nop 0
	v_cndmask_b32_e32 v15, -1, v3, vcc
	v_xor_b32_e32 v12, v15, v12
	v_cmp_gt_u16_e32 vcc, v12, v4
	s_nop 1
	v_cndmask_b32_e32 v11, v11, v16, vcc
	v_cndmask_b32_e32 v1, v13, v1, vcc
	v_cmp_ge_u32_e32 vcc, v1, v11
	s_or_b64 s[4:5], vcc, s[4:5]
	s_andn2_b64 exec, exec, s[4:5]
	s_cbranch_execnz .LBB2_3
; %bb.4:
	s_or_b64 exec, exec, s[4:5]
.LBB2_5:
	s_or_b64 exec, exec, s[2:3]
	s_load_dwordx2 s[0:1], s[0:1], 0x10
	v_add_u32_e32 v2, v1, v2
	v_mov_b32_e32 v1, 0
	s_waitcnt lgkmcnt(0)
	v_lshl_add_u64 v[0:1], v[0:1], 2, s[0:1]
	global_store_dword v[0:1], v2, off
.LBB2_6:
	s_endpgm
	.section	.rodata,"a",@progbits
	.p2align	6, 0x0
	.amdhsa_kernel _ZN7rocprim17ROCPRIM_304000_NS6detail45device_block_merge_mergepath_partition_kernelINS1_37wrapped_merge_sort_block_merge_configINS0_14default_configE12hip_bfloat16N2at4cuda3cub6detail10OpaqueTypeILi8EEEEEPS5_jNS1_19radix_merge_compareILb1ELb0ES5_NS0_19identity_decomposerEEEEEvT0_T1_jPSI_T2_SI_
		.amdhsa_group_segment_fixed_size 0
		.amdhsa_private_segment_fixed_size 0
		.amdhsa_kernarg_size 32
		.amdhsa_user_sgpr_count 2
		.amdhsa_user_sgpr_dispatch_ptr 0
		.amdhsa_user_sgpr_queue_ptr 0
		.amdhsa_user_sgpr_kernarg_segment_ptr 1
		.amdhsa_user_sgpr_dispatch_id 0
		.amdhsa_user_sgpr_kernarg_preload_length 0
		.amdhsa_user_sgpr_kernarg_preload_offset 0
		.amdhsa_user_sgpr_private_segment_size 0
		.amdhsa_uses_dynamic_stack 0
		.amdhsa_enable_private_segment 0
		.amdhsa_system_sgpr_workgroup_id_x 1
		.amdhsa_system_sgpr_workgroup_id_y 0
		.amdhsa_system_sgpr_workgroup_id_z 0
		.amdhsa_system_sgpr_workgroup_info 0
		.amdhsa_system_vgpr_workitem_id 0
		.amdhsa_next_free_vgpr 17
		.amdhsa_next_free_sgpr 8
		.amdhsa_accum_offset 20
		.amdhsa_reserve_vcc 1
		.amdhsa_float_round_mode_32 0
		.amdhsa_float_round_mode_16_64 0
		.amdhsa_float_denorm_mode_32 3
		.amdhsa_float_denorm_mode_16_64 3
		.amdhsa_dx10_clamp 1
		.amdhsa_ieee_mode 1
		.amdhsa_fp16_overflow 0
		.amdhsa_tg_split 0
		.amdhsa_exception_fp_ieee_invalid_op 0
		.amdhsa_exception_fp_denorm_src 0
		.amdhsa_exception_fp_ieee_div_zero 0
		.amdhsa_exception_fp_ieee_overflow 0
		.amdhsa_exception_fp_ieee_underflow 0
		.amdhsa_exception_fp_ieee_inexact 0
		.amdhsa_exception_int_div_zero 0
	.end_amdhsa_kernel
	.section	.text._ZN7rocprim17ROCPRIM_304000_NS6detail45device_block_merge_mergepath_partition_kernelINS1_37wrapped_merge_sort_block_merge_configINS0_14default_configE12hip_bfloat16N2at4cuda3cub6detail10OpaqueTypeILi8EEEEEPS5_jNS1_19radix_merge_compareILb1ELb0ES5_NS0_19identity_decomposerEEEEEvT0_T1_jPSI_T2_SI_,"axG",@progbits,_ZN7rocprim17ROCPRIM_304000_NS6detail45device_block_merge_mergepath_partition_kernelINS1_37wrapped_merge_sort_block_merge_configINS0_14default_configE12hip_bfloat16N2at4cuda3cub6detail10OpaqueTypeILi8EEEEEPS5_jNS1_19radix_merge_compareILb1ELb0ES5_NS0_19identity_decomposerEEEEEvT0_T1_jPSI_T2_SI_,comdat
.Lfunc_end2:
	.size	_ZN7rocprim17ROCPRIM_304000_NS6detail45device_block_merge_mergepath_partition_kernelINS1_37wrapped_merge_sort_block_merge_configINS0_14default_configE12hip_bfloat16N2at4cuda3cub6detail10OpaqueTypeILi8EEEEEPS5_jNS1_19radix_merge_compareILb1ELb0ES5_NS0_19identity_decomposerEEEEEvT0_T1_jPSI_T2_SI_, .Lfunc_end2-_ZN7rocprim17ROCPRIM_304000_NS6detail45device_block_merge_mergepath_partition_kernelINS1_37wrapped_merge_sort_block_merge_configINS0_14default_configE12hip_bfloat16N2at4cuda3cub6detail10OpaqueTypeILi8EEEEEPS5_jNS1_19radix_merge_compareILb1ELb0ES5_NS0_19identity_decomposerEEEEEvT0_T1_jPSI_T2_SI_
                                        ; -- End function
	.section	.AMDGPU.csdata,"",@progbits
; Kernel info:
; codeLenInByte = 396
; NumSgprs: 14
; NumVgprs: 17
; NumAgprs: 0
; TotalNumVgprs: 17
; ScratchSize: 0
; MemoryBound: 0
; FloatMode: 240
; IeeeMode: 1
; LDSByteSize: 0 bytes/workgroup (compile time only)
; SGPRBlocks: 1
; VGPRBlocks: 2
; NumSGPRsForWavesPerEU: 14
; NumVGPRsForWavesPerEU: 17
; AccumOffset: 20
; Occupancy: 8
; WaveLimiterHint : 0
; COMPUTE_PGM_RSRC2:SCRATCH_EN: 0
; COMPUTE_PGM_RSRC2:USER_SGPR: 2
; COMPUTE_PGM_RSRC2:TRAP_HANDLER: 0
; COMPUTE_PGM_RSRC2:TGID_X_EN: 1
; COMPUTE_PGM_RSRC2:TGID_Y_EN: 0
; COMPUTE_PGM_RSRC2:TGID_Z_EN: 0
; COMPUTE_PGM_RSRC2:TIDIG_COMP_CNT: 0
; COMPUTE_PGM_RSRC3_GFX90A:ACCUM_OFFSET: 4
; COMPUTE_PGM_RSRC3_GFX90A:TG_SPLIT: 0
	.section	.text._ZN7rocprim17ROCPRIM_304000_NS6detail35device_block_merge_mergepath_kernelINS1_37wrapped_merge_sort_block_merge_configINS0_14default_configE12hip_bfloat16N2at4cuda3cub6detail10OpaqueTypeILi8EEEEEPS5_SD_PSB_SE_jNS1_19radix_merge_compareILb1ELb0ES5_NS0_19identity_decomposerEEEEEvT0_T1_T2_T3_T4_SM_jT5_PKSM_NS1_7vsmem_tE,"axG",@progbits,_ZN7rocprim17ROCPRIM_304000_NS6detail35device_block_merge_mergepath_kernelINS1_37wrapped_merge_sort_block_merge_configINS0_14default_configE12hip_bfloat16N2at4cuda3cub6detail10OpaqueTypeILi8EEEEEPS5_SD_PSB_SE_jNS1_19radix_merge_compareILb1ELb0ES5_NS0_19identity_decomposerEEEEEvT0_T1_T2_T3_T4_SM_jT5_PKSM_NS1_7vsmem_tE,comdat
	.protected	_ZN7rocprim17ROCPRIM_304000_NS6detail35device_block_merge_mergepath_kernelINS1_37wrapped_merge_sort_block_merge_configINS0_14default_configE12hip_bfloat16N2at4cuda3cub6detail10OpaqueTypeILi8EEEEEPS5_SD_PSB_SE_jNS1_19radix_merge_compareILb1ELb0ES5_NS0_19identity_decomposerEEEEEvT0_T1_T2_T3_T4_SM_jT5_PKSM_NS1_7vsmem_tE ; -- Begin function _ZN7rocprim17ROCPRIM_304000_NS6detail35device_block_merge_mergepath_kernelINS1_37wrapped_merge_sort_block_merge_configINS0_14default_configE12hip_bfloat16N2at4cuda3cub6detail10OpaqueTypeILi8EEEEEPS5_SD_PSB_SE_jNS1_19radix_merge_compareILb1ELb0ES5_NS0_19identity_decomposerEEEEEvT0_T1_T2_T3_T4_SM_jT5_PKSM_NS1_7vsmem_tE
	.globl	_ZN7rocprim17ROCPRIM_304000_NS6detail35device_block_merge_mergepath_kernelINS1_37wrapped_merge_sort_block_merge_configINS0_14default_configE12hip_bfloat16N2at4cuda3cub6detail10OpaqueTypeILi8EEEEEPS5_SD_PSB_SE_jNS1_19radix_merge_compareILb1ELb0ES5_NS0_19identity_decomposerEEEEEvT0_T1_T2_T3_T4_SM_jT5_PKSM_NS1_7vsmem_tE
	.p2align	8
	.type	_ZN7rocprim17ROCPRIM_304000_NS6detail35device_block_merge_mergepath_kernelINS1_37wrapped_merge_sort_block_merge_configINS0_14default_configE12hip_bfloat16N2at4cuda3cub6detail10OpaqueTypeILi8EEEEEPS5_SD_PSB_SE_jNS1_19radix_merge_compareILb1ELb0ES5_NS0_19identity_decomposerEEEEEvT0_T1_T2_T3_T4_SM_jT5_PKSM_NS1_7vsmem_tE,@function
_ZN7rocprim17ROCPRIM_304000_NS6detail35device_block_merge_mergepath_kernelINS1_37wrapped_merge_sort_block_merge_configINS0_14default_configE12hip_bfloat16N2at4cuda3cub6detail10OpaqueTypeILi8EEEEEPS5_SD_PSB_SE_jNS1_19radix_merge_compareILb1ELb0ES5_NS0_19identity_decomposerEEEEEvT0_T1_T2_T3_T4_SM_jT5_PKSM_NS1_7vsmem_tE: ; @_ZN7rocprim17ROCPRIM_304000_NS6detail35device_block_merge_mergepath_kernelINS1_37wrapped_merge_sort_block_merge_configINS0_14default_configE12hip_bfloat16N2at4cuda3cub6detail10OpaqueTypeILi8EEEEEPS5_SD_PSB_SE_jNS1_19radix_merge_compareILb1ELb0ES5_NS0_19identity_decomposerEEEEEvT0_T1_T2_T3_T4_SM_jT5_PKSM_NS1_7vsmem_tE
; %bb.0:
	s_load_dwordx2 s[26:27], s[0:1], 0x40
	s_load_dwordx4 s[12:15], s[0:1], 0x20
	s_add_u32 s24, s0, 64
	s_addc_u32 s25, s1, 0
	s_waitcnt lgkmcnt(0)
	s_mul_i32 s4, s27, s4
	s_add_i32 s3, s4, s3
	s_mul_i32 s3, s3, s26
	s_add_i32 s22, s3, s2
	s_cmp_ge_u32 s22, s14
	s_cbranch_scc1 .LBB3_91
; %bb.1:
	s_load_dwordx8 s[4:11], s[0:1], 0x0
	s_load_dwordx2 s[14:15], s[0:1], 0x30
	s_lshr_b32 s27, s12, 10
	s_cmp_lg_u32 s22, s27
	s_mov_b32 s23, 0
	s_cselect_b64 s[16:17], -1, 0
	s_lshl_b64 s[0:1], s[22:23], 2
	s_waitcnt lgkmcnt(0)
	s_add_u32 s0, s14, s0
	s_addc_u32 s1, s15, s1
	s_load_dwordx2 s[18:19], s[0:1], 0x0
	s_lshr_b32 s0, s13, 9
	s_and_b32 s0, s0, 0x7ffffe
	s_sub_i32 s0, 0, s0
	s_and_b32 s1, s22, s0
	s_lshl_b32 s3, s1, 10
	s_lshl_b32 s14, s22, 10
	;; [unrolled: 1-line block ×3, first 2 shown]
	s_sub_i32 s15, s14, s3
	s_add_i32 s1, s1, s13
	s_add_i32 s15, s1, s15
	s_waitcnt lgkmcnt(0)
	s_sub_i32 s20, s15, s18
	s_sub_i32 s15, s15, s19
	;; [unrolled: 1-line block ×3, first 2 shown]
	s_min_u32 s20, s12, s20
	s_addk_i32 s15, 0x400
	s_or_b32 s0, s22, s0
	s_min_u32 s3, s12, s1
	s_add_i32 s1, s1, s13
	s_cmp_eq_u32 s0, -1
	s_cselect_b32 s0, s1, s15
	s_cselect_b32 s1, s3, s19
	s_min_u32 s0, s0, s12
	s_mov_b32 s19, s23
	s_sub_i32 s13, s1, s18
	s_sub_i32 s15, s0, s20
	s_lshl_b64 s[0:1], s[18:19], 1
	s_add_u32 s0, s4, s0
	s_mov_b32 s21, s23
	s_addc_u32 s1, s5, s1
	s_lshl_b64 s[28:29], s[20:21], 1
	s_add_u32 s4, s4, s28
	s_addc_u32 s5, s5, s29
	s_cmp_lt_u32 s2, s26
	v_mov_b32_e32 v3, 0
	s_cselect_b32 s2, 12, 18
	global_load_dword v1, v3, s[24:25] offset:14
	s_add_u32 s2, s24, s2
	s_addc_u32 s3, s25, 0
	global_load_ushort v2, v3, s[2:3]
	v_cmp_gt_u32_e32 vcc, s13, v0
	s_cmp_eq_u32 s22, s27
	s_waitcnt vmcnt(1)
	v_lshrrev_b32_e32 v4, 16, v1
	v_and_b32_e32 v1, 0xffff, v1
	v_mul_lo_u32 v1, v1, v4
	s_waitcnt vmcnt(0)
	v_mul_lo_u32 v11, v1, v2
	v_add_u32_e32 v6, v11, v0
	v_lshlrev_b32_e32 v2, 1, v0
	v_add_u32_e32 v4, v6, v11
	s_cbranch_scc1 .LBB3_3
; %bb.2:
	v_subrev_u32_e32 v12, s13, v0
	v_mov_b32_e32 v13, v3
	v_lshl_add_u64 v[8:9], s[0:1], 0, v[2:3]
	v_lshl_add_u64 v[12:13], v[12:13], 1, s[4:5]
	v_cndmask_b32_e32 v9, v13, v9, vcc
	v_cndmask_b32_e32 v8, v12, v8, vcc
	v_mov_b32_e32 v7, v3
	v_subrev_u32_e32 v12, s13, v6
	v_mov_b32_e32 v13, v3
	global_load_ushort v1, v[8:9], off
	v_lshl_add_u64 v[8:9], v[6:7], 1, s[0:1]
	v_lshl_add_u64 v[12:13], v[12:13], 1, s[4:5]
	v_cmp_gt_u32_e32 vcc, s13, v6
	v_mov_b32_e32 v5, v3
	v_mov_b32_e32 v17, v3
	v_cndmask_b32_e32 v9, v13, v9, vcc
	v_cndmask_b32_e32 v8, v12, v8, vcc
	v_subrev_u32_e32 v12, s13, v4
	v_mov_b32_e32 v13, v3
	global_load_ushort v10, v[8:9], off
	v_lshl_add_u64 v[8:9], v[4:5], 1, s[0:1]
	v_lshl_add_u64 v[12:13], v[12:13], 1, s[4:5]
	v_cmp_gt_u32_e32 vcc, s13, v4
	s_add_i32 s24, s15, s13
	s_nop 0
	v_cndmask_b32_e32 v9, v13, v9, vcc
	v_cndmask_b32_e32 v8, v12, v8, vcc
	global_load_ushort v12, v[8:9], off
	v_add_u32_e32 v8, v4, v11
	v_mov_b32_e32 v9, v3
	v_subrev_u32_e32 v16, s13, v8
	v_lshl_add_u64 v[14:15], v[8:9], 1, s[0:1]
	v_lshl_add_u64 v[16:17], v[16:17], 1, s[4:5]
	v_cmp_gt_u32_e32 vcc, s13, v8
	s_mov_b64 s[2:3], -1
	s_nop 0
	v_cndmask_b32_e32 v9, v17, v15, vcc
	v_cndmask_b32_e32 v8, v16, v14, vcc
	s_cbranch_execz .LBB3_4
	s_branch .LBB3_13
.LBB3_3:
	s_mov_b64 s[2:3], 0
                                        ; implicit-def: $vgpr8_vgpr9
                                        ; implicit-def: $vgpr12
                                        ; implicit-def: $vgpr10
                                        ; implicit-def: $vgpr1
                                        ; implicit-def: $sgpr24
.LBB3_4:
	s_add_i32 s24, s15, s13
	v_cmp_gt_u32_e32 vcc, s24, v0
                                        ; implicit-def: $vgpr1
	s_and_saveexec_b64 s[22:23], vcc
	s_cbranch_execz .LBB3_6
; %bb.5:
	v_mov_b32_e32 v3, 0
	s_waitcnt vmcnt(0)
	v_subrev_u32_e32 v12, s13, v0
	v_mov_b32_e32 v13, v3
	v_lshl_add_u64 v[8:9], s[0:1], 0, v[2:3]
	v_lshl_add_u64 v[12:13], v[12:13], 1, s[4:5]
	v_cmp_gt_u32_e32 vcc, s13, v0
	s_nop 1
	v_cndmask_b32_e32 v9, v13, v9, vcc
	v_cndmask_b32_e32 v8, v12, v8, vcc
	global_load_ushort v1, v[8:9], off
.LBB3_6:
	s_or_b64 exec, exec, s[22:23]
	v_cmp_gt_u32_e32 vcc, s24, v6
                                        ; implicit-def: $vgpr10
	s_and_saveexec_b64 s[22:23], vcc
	s_cbranch_execz .LBB3_8
; %bb.7:
	v_mov_b32_e32 v7, 0
	v_lshl_add_u64 v[8:9], v[6:7], 1, s[0:1]
	v_cmp_gt_u32_e32 vcc, s13, v6
	v_subrev_u32_e32 v6, s13, v6
	v_lshl_add_u64 v[6:7], v[6:7], 1, s[4:5]
	v_cndmask_b32_e32 v7, v7, v9, vcc
	v_cndmask_b32_e32 v6, v6, v8, vcc
	global_load_ushort v10, v[6:7], off
.LBB3_8:
	s_or_b64 exec, exec, s[22:23]
	v_cmp_gt_u32_e32 vcc, s24, v4
                                        ; implicit-def: $vgpr12
	s_and_saveexec_b64 s[22:23], vcc
	s_cbranch_execz .LBB3_10
; %bb.9:
	v_mov_b32_e32 v5, 0
	v_subrev_u32_e32 v8, s13, v4
	v_mov_b32_e32 v9, v5
	v_lshl_add_u64 v[6:7], v[4:5], 1, s[0:1]
	v_lshl_add_u64 v[8:9], v[8:9], 1, s[4:5]
	v_cmp_gt_u32_e32 vcc, s13, v4
	s_nop 1
	v_cndmask_b32_e32 v7, v9, v7, vcc
	v_cndmask_b32_e32 v6, v8, v6, vcc
	global_load_ushort v12, v[6:7], off
.LBB3_10:
	s_or_b64 exec, exec, s[22:23]
	v_add_u32_e32 v4, v4, v11
	v_cmp_gt_u32_e32 vcc, s24, v4
                                        ; implicit-def: $vgpr8_vgpr9
	s_and_saveexec_b64 s[22:23], vcc
; %bb.11:
	v_mov_b32_e32 v5, 0
	v_lshl_add_u64 v[6:7], v[4:5], 1, s[0:1]
	v_cmp_gt_u32_e32 vcc, s13, v4
	v_subrev_u32_e32 v4, s13, v4
	v_lshl_add_u64 v[4:5], v[4:5], 1, s[4:5]
	v_cndmask_b32_e32 v9, v5, v7, vcc
	v_cndmask_b32_e32 v8, v4, v6, vcc
	s_or_b64 s[2:3], s[2:3], exec
; %bb.12:
	s_or_b64 exec, exec, s[22:23]
.LBB3_13:
	v_mov_b32_e32 v11, s24
                                        ; implicit-def: $vgpr13
	s_and_saveexec_b64 s[0:1], s[2:3]
	s_cbranch_execz .LBB3_15
; %bb.14:
	global_load_ushort v13, v[8:9], off
	v_mov_b32_e32 v11, s24
.LBB3_15:
	s_or_b64 exec, exec, s[0:1]
	v_lshlrev_b32_e32 v3, 2, v0
	v_min_u32_e32 v4, v11, v3
	v_sub_u32_e64 v5, v4, s15 clamp
	v_min_u32_e32 v6, s13, v4
	v_cmp_lt_u32_e32 vcc, v5, v6
	s_waitcnt vmcnt(0)
	ds_write_b16 v2, v1
	ds_write_b16 v2, v10 offset:512
	ds_write_b16 v2, v12 offset:1024
	;; [unrolled: 1-line block ×3, first 2 shown]
	s_waitcnt lgkmcnt(0)
	s_barrier
	s_and_saveexec_b64 s[0:1], vcc
	s_cbranch_execz .LBB3_19
; %bb.16:
	v_lshlrev_b32_e32 v7, 1, v4
	v_lshl_add_u32 v7, s13, 1, v7
	s_mov_b64 s[2:3], 0
	s_movk_i32 s4, 0x8000
	v_mov_b32_e32 v8, 0xffff8000
.LBB3_17:                               ; =>This Inner Loop Header: Depth=1
	v_add_u32_e32 v9, v6, v5
	v_lshrrev_b32_e32 v14, 1, v9
	v_and_b32_e32 v9, -2, v9
	ds_read_u16 v9, v9
	v_not_b32_e32 v15, v14
	v_lshl_add_u32 v15, v15, 1, v7
	ds_read_u16 v15, v15
	v_add_u32_e32 v16, 1, v14
	s_waitcnt lgkmcnt(1)
	v_cmp_ne_u16_e32 vcc, s4, v9
	s_nop 1
	v_cndmask_b32_e32 v9, 0, v9, vcc
	v_cmp_lt_i16_e32 vcc, -1, v9
	s_nop 1
	v_cndmask_b32_e32 v17, -1, v8, vcc
	s_waitcnt lgkmcnt(0)
	v_cmp_ne_u16_e32 vcc, s4, v15
	v_xor_b32_e32 v9, v17, v9
	s_nop 0
	v_cndmask_b32_e32 v15, 0, v15, vcc
	v_cmp_lt_i16_e32 vcc, -1, v15
	s_nop 1
	v_cndmask_b32_e32 v17, -1, v8, vcc
	v_xor_b32_e32 v15, v17, v15
	v_cmp_gt_u16_e32 vcc, v15, v9
	s_nop 1
	v_cndmask_b32_e32 v6, v6, v14, vcc
	v_cndmask_b32_e32 v5, v16, v5, vcc
	v_cmp_ge_u32_e32 vcc, v5, v6
	s_or_b64 s[2:3], vcc, s[2:3]
	s_andn2_b64 exec, exec, s[2:3]
	s_cbranch_execnz .LBB3_17
; %bb.18:
	s_or_b64 exec, exec, s[2:3]
.LBB3_19:
	s_or_b64 exec, exec, s[0:1]
	v_sub_u32_e32 v4, v4, v5
	v_add_u32_e32 v6, s13, v4
	v_cmp_ge_u32_e32 vcc, s13, v5
	v_cmp_le_u32_e64 s[0:1], v6, v11
	s_or_b64 s[0:1], vcc, s[0:1]
                                        ; implicit-def: $vgpr15
                                        ; implicit-def: $vgpr14
                                        ; implicit-def: $vgpr9
                                        ; implicit-def: $vgpr8
	s_and_saveexec_b64 s[2:3], s[0:1]
	s_cbranch_execz .LBB3_39
; %bb.20:
	v_cmp_le_u32_e32 vcc, s13, v5
	v_cmp_gt_u32_e64 s[0:1], s13, v5
                                        ; implicit-def: $vgpr1
	s_and_saveexec_b64 s[4:5], s[0:1]
	s_cbranch_execz .LBB3_22
; %bb.21:
	v_lshlrev_b32_e32 v1, 1, v5
	ds_read_u16 v1, v1
.LBB3_22:
	s_or_b64 exec, exec, s[4:5]
	v_cmp_ge_u32_e64 s[4:5], v6, v11
	v_cmp_lt_u32_e64 s[0:1], v6, v11
                                        ; implicit-def: $vgpr4
	s_and_saveexec_b64 s[22:23], s[0:1]
	s_cbranch_execz .LBB3_24
; %bb.23:
	v_lshlrev_b32_e32 v4, 1, v6
	ds_read_u16 v4, v4
.LBB3_24:
	s_or_b64 exec, exec, s[22:23]
	s_or_b64 s[22:23], vcc, s[4:5]
	s_mov_b64 s[0:1], -1
	s_xor_b64 s[24:25], s[22:23], -1
	s_and_saveexec_b64 s[22:23], s[24:25]
	s_cbranch_execz .LBB3_26
; %bb.25:
	s_movk_i32 s24, 0x8000
	s_waitcnt lgkmcnt(0)
	v_cmp_ne_u16_e32 vcc, s24, v4
	v_mov_b32_e32 v9, 0xffff8000
	s_andn2_b64 s[4:5], s[4:5], exec
	v_cndmask_b32_e32 v7, 0, v4, vcc
	v_cmp_ne_u16_e32 vcc, s24, v1
	s_nop 1
	v_cndmask_b32_e32 v8, 0, v1, vcc
	v_cmp_lt_i16_e32 vcc, -1, v7
	s_nop 1
	v_cndmask_b32_e32 v10, -1, v9, vcc
	v_cmp_lt_i16_e32 vcc, -1, v8
	v_xor_b32_e32 v7, v10, v7
	s_nop 0
	v_cndmask_b32_e32 v9, -1, v9, vcc
	v_xor_b32_e32 v8, v9, v8
	v_cmp_le_u16_e32 vcc, v7, v8
	s_and_b64 s[24:25], vcc, exec
	s_or_b64 s[4:5], s[4:5], s[24:25]
.LBB3_26:
	s_or_b64 exec, exec, s[22:23]
	v_mov_b32_e32 v7, s13
	v_cndmask_b32_e64 v8, v6, v5, s[4:5]
	v_cndmask_b32_e64 v7, v11, v7, s[4:5]
	v_add_u32_e32 v9, 1, v8
	v_add_u32_e32 v7, -1, v7
	v_min_u32_e32 v7, v9, v7
	v_lshlrev_b32_e32 v7, 1, v7
	ds_read_u16 v7, v7
	v_cndmask_b32_e64 v10, v9, v6, s[4:5]
	v_cndmask_b32_e64 v13, v5, v9, s[4:5]
	v_cmp_lt_u32_e32 vcc, v10, v11
	s_waitcnt lgkmcnt(0)
	v_cndmask_b32_e64 v6, v7, v4, s[4:5]
	v_cndmask_b32_e64 v7, v1, v7, s[4:5]
	s_and_saveexec_b64 s[22:23], vcc
	s_cbranch_execz .LBB3_30
; %bb.27:
	v_cmp_gt_u32_e32 vcc, s13, v13
	s_mov_b64 s[24:25], 0
	s_and_saveexec_b64 s[0:1], vcc
	s_cbranch_execz .LBB3_29
; %bb.28:
	s_movk_i32 s24, 0x8000
	v_cmp_ne_u16_e32 vcc, s24, v6
	v_mov_b32_e32 v12, 0xffff8000
	s_nop 0
	v_cndmask_b32_e32 v5, 0, v6, vcc
	v_cmp_ne_u16_e32 vcc, s24, v7
	s_nop 1
	v_cndmask_b32_e32 v9, 0, v7, vcc
	v_cmp_lt_i16_e32 vcc, -1, v5
	s_nop 1
	v_cndmask_b32_e32 v14, -1, v12, vcc
	v_cmp_lt_i16_e32 vcc, -1, v9
	v_xor_b32_e32 v5, v14, v5
	s_nop 0
	v_cndmask_b32_e32 v12, -1, v12, vcc
	v_xor_b32_e32 v9, v12, v9
	v_cmp_le_u16_e32 vcc, v5, v9
	s_and_b64 s[24:25], vcc, exec
.LBB3_29:
	s_or_b64 exec, exec, s[0:1]
	s_orn2_b64 s[0:1], s[24:25], exec
.LBB3_30:
	s_or_b64 exec, exec, s[22:23]
	v_mov_b32_e32 v5, s13
	v_cndmask_b32_e64 v9, v10, v13, s[0:1]
	v_cndmask_b32_e64 v5, v11, v5, s[0:1]
	v_add_u32_e32 v14, 1, v9
	v_add_u32_e32 v5, -1, v5
	v_min_u32_e32 v5, v14, v5
	v_lshlrev_b32_e32 v5, 1, v5
	ds_read_u16 v15, v5
	v_cndmask_b32_e64 v12, v14, v10, s[0:1]
	v_cndmask_b32_e64 v13, v13, v14, s[0:1]
	v_cmp_lt_u32_e32 vcc, v12, v11
	s_mov_b64 s[22:23], -1
	s_waitcnt lgkmcnt(0)
	v_cndmask_b32_e64 v5, v15, v6, s[0:1]
	v_cndmask_b32_e64 v10, v7, v15, s[0:1]
	s_mov_b64 s[24:25], -1
	s_and_saveexec_b64 s[26:27], vcc
	s_cbranch_execz .LBB3_34
; %bb.31:
	v_cmp_gt_u32_e32 vcc, s13, v13
	s_mov_b64 s[28:29], 0
	s_and_saveexec_b64 s[24:25], vcc
	s_cbranch_execz .LBB3_33
; %bb.32:
	s_movk_i32 s28, 0x8000
	v_cmp_ne_u16_e32 vcc, s28, v5
	v_mov_b32_e32 v16, 0xffff8000
	s_nop 0
	v_cndmask_b32_e32 v14, 0, v5, vcc
	v_cmp_ne_u16_e32 vcc, s28, v10
	s_nop 1
	v_cndmask_b32_e32 v15, 0, v10, vcc
	v_cmp_lt_i16_e32 vcc, -1, v14
	s_nop 1
	v_cndmask_b32_e32 v17, -1, v16, vcc
	v_cmp_lt_i16_e32 vcc, -1, v15
	v_xor_b32_e32 v14, v17, v14
	s_nop 0
	v_cndmask_b32_e32 v16, -1, v16, vcc
	v_xor_b32_e32 v15, v16, v15
	v_cmp_le_u16_e32 vcc, v14, v15
	s_and_b64 s[28:29], vcc, exec
.LBB3_33:
	s_or_b64 exec, exec, s[24:25]
	s_orn2_b64 s[24:25], s[28:29], exec
.LBB3_34:
	s_or_b64 exec, exec, s[26:27]
	v_mov_b32_e32 v15, s13
	v_cndmask_b32_e64 v14, v12, v13, s[24:25]
	v_cndmask_b32_e64 v15, v11, v15, s[24:25]
	v_add_u32_e32 v18, 1, v14
	v_add_u32_e32 v15, -1, v15
	v_min_u32_e32 v15, v18, v15
	v_lshlrev_b32_e32 v15, 1, v15
	ds_read_u16 v17, v15
	v_cndmask_b32_e64 v15, v18, v12, s[24:25]
	v_cndmask_b32_e64 v13, v13, v18, s[24:25]
	v_cmp_lt_u32_e32 vcc, v15, v11
	s_waitcnt lgkmcnt(0)
	v_cndmask_b32_e64 v16, v17, v5, s[24:25]
	v_cndmask_b32_e64 v17, v10, v17, s[24:25]
	s_and_saveexec_b64 s[26:27], vcc
	s_cbranch_execz .LBB3_38
; %bb.35:
	v_cmp_gt_u32_e32 vcc, s13, v13
	s_mov_b64 s[28:29], 0
	s_and_saveexec_b64 s[22:23], vcc
	s_cbranch_execz .LBB3_37
; %bb.36:
	s_movk_i32 s28, 0x8000
	v_cmp_ne_u16_e32 vcc, s28, v16
	v_mov_b32_e32 v19, 0xffff8000
	s_nop 0
	v_cndmask_b32_e32 v12, 0, v16, vcc
	v_cmp_ne_u16_e32 vcc, s28, v17
	s_nop 1
	v_cndmask_b32_e32 v18, 0, v17, vcc
	v_cmp_lt_i16_e32 vcc, -1, v12
	s_nop 1
	v_cndmask_b32_e32 v20, -1, v19, vcc
	v_cmp_lt_i16_e32 vcc, -1, v18
	v_xor_b32_e32 v12, v20, v12
	s_nop 0
	v_cndmask_b32_e32 v19, -1, v19, vcc
	v_xor_b32_e32 v18, v19, v18
	v_cmp_le_u16_e32 vcc, v12, v18
	s_and_b64 s[28:29], vcc, exec
.LBB3_37:
	s_or_b64 exec, exec, s[22:23]
	s_orn2_b64 s[22:23], s[28:29], exec
.LBB3_38:
	s_or_b64 exec, exec, s[26:27]
	v_cndmask_b32_e64 v12, v5, v10, s[24:25]
	v_cndmask_b32_e64 v10, v6, v7, s[0:1]
	;; [unrolled: 1-line block ×5, first 2 shown]
.LBB3_39:
	s_or_b64 exec, exec, s[2:3]
	s_lshl_b64 s[0:1], s[18:19], 3
	s_add_u32 s22, s8, s0
	s_addc_u32 s23, s9, s1
	s_lshl_b64 s[0:1], s[20:21], 3
	s_add_u32 s24, s8, s0
	v_cndmask_b32_e64 v4, 0, 1, s[16:17]
	s_addc_u32 s25, s9, s1
	v_cmp_gt_u32_e64 s[4:5], s13, v0
	v_cmp_ne_u32_e64 s[0:1], 1, v4
	s_andn2_b64 vcc, exec, s[16:17]
	v_cmp_le_u32_e64 s[2:3], s13, v0
	s_barrier
	s_cbranch_vccnz .LBB3_41
; %bb.40:
	v_subrev_u32_e32 v6, s13, v0
	v_mov_b32_e32 v7, 0
	v_lshl_add_u64 v[4:5], v[6:7], 3, s[24:25]
	v_lshlrev_b32_e32 v6, 3, v0
	v_lshl_add_u64 v[18:19], s[22:23], 0, v[6:7]
	v_or_b32_e32 v22, 0x100, v0
	v_cndmask_b32_e64 v5, v5, v19, s[4:5]
	v_cndmask_b32_e64 v4, v4, v18, s[4:5]
	s_mov_b64 s[4:5], 0x800
	v_subrev_u32_e32 v16, s13, v22
	v_mov_b32_e32 v17, v7
	global_load_dwordx2 v[20:21], v[4:5], off
	v_lshl_add_u64 v[4:5], v[18:19], 0, s[4:5]
	v_lshl_add_u64 v[16:17], v[16:17], 3, s[24:25]
	v_cmp_gt_u32_e32 vcc, s13, v22
	v_or_b32_e32 v24, 0x200, v0
	s_mov_b64 s[4:5], 0x1000
	v_cndmask_b32_e32 v5, v17, v5, vcc
	v_cndmask_b32_e32 v4, v16, v4, vcc
	v_subrev_u32_e32 v16, s13, v24
	v_mov_b32_e32 v17, v7
	global_load_dwordx2 v[22:23], v[4:5], off
	v_lshl_add_u64 v[4:5], v[18:19], 0, s[4:5]
	v_lshl_add_u64 v[16:17], v[16:17], 3, s[24:25]
	v_cmp_gt_u32_e32 vcc, s13, v24
	s_mov_b64 s[4:5], 0x1800
	v_lshl_add_u64 v[18:19], v[18:19], 0, s[4:5]
	v_cndmask_b32_e32 v5, v17, v5, vcc
	v_cndmask_b32_e32 v4, v16, v4, vcc
	global_load_dwordx2 v[24:25], v[4:5], off
	v_or_b32_e32 v17, 0x300, v0
	v_subrev_u32_e32 v4, s13, v17
	v_mov_b32_e32 v5, v7
	v_lshl_add_u64 v[4:5], v[4:5], 3, s[24:25]
	v_cmp_gt_u32_e32 vcc, s13, v17
	v_or_b32_e32 v16, 0x1800, v6
	s_nop 0
	v_cndmask_b32_e32 v5, v5, v19, vcc
	v_cndmask_b32_e32 v4, v4, v18, vcc
	s_mov_b64 s[4:5], -1
	s_waitcnt vmcnt(1)
	ds_write2st64_b64 v6, v[20:21], v[22:23] offset1:4
	s_waitcnt vmcnt(0)
	ds_write_b64 v6, v[24:25] offset:4096
	s_cbranch_execz .LBB3_42
	s_branch .LBB3_63
.LBB3_41:
	s_mov_b64 s[4:5], 0
                                        ; implicit-def: $vgpr16
                                        ; implicit-def: $vgpr4_vgpr5
.LBB3_42:
	s_mov_b64 s[26:27], 0
                                        ; implicit-def: $vgpr4_vgpr5
	s_and_saveexec_b64 s[28:29], s[2:3]
	s_xor_b64 s[2:3], exec, s[28:29]
	s_cbranch_execz .LBB3_67
; %bb.43:
	v_subrev_u32_e32 v6, s13, v0
	v_cmp_gt_u32_e32 vcc, s15, v6
                                        ; implicit-def: $vgpr4_vgpr5
	s_and_saveexec_b64 s[28:29], vcc
	s_xor_b64 s[28:29], exec, s[28:29]
; %bb.44:
	v_mov_b32_e32 v7, 0
	s_mov_b64 s[26:27], exec
	v_lshl_add_u64 v[4:5], v[6:7], 3, s[24:25]
; %bb.45:
	s_or_b64 exec, exec, s[28:29]
	s_and_b64 s[26:27], s[26:27], exec
	s_andn2_saveexec_b64 s[2:3], s[2:3]
	s_cbranch_execnz .LBB3_68
.LBB3_46:
	s_or_b64 exec, exec, s[2:3]
	v_mad_u32_u24 v16, v0, 6, v2
	s_and_saveexec_b64 s[2:3], s[26:27]
	s_cbranch_execz .LBB3_48
.LBB3_47:
	global_load_dwordx2 v[4:5], v[4:5], off
	s_waitcnt vmcnt(0)
	ds_write_b64 v16, v[4:5]
.LBB3_48:
	s_or_b64 exec, exec, s[2:3]
	v_or_b32_e32 v4, 0x100, v0
	v_cmp_le_u32_e32 vcc, s13, v4
	s_mov_b64 s[2:3], -1
	v_mov_b64_e32 v[6:7], s[18:19]
	s_and_saveexec_b64 s[26:27], vcc
; %bb.49:
	v_subrev_u32_e32 v4, s13, v4
	v_cmp_gt_u32_e32 vcc, s15, v4
	v_mov_b64_e32 v[6:7], s[20:21]
	s_orn2_b64 s[2:3], vcc, exec
; %bb.50:
	s_or_b64 exec, exec, s[26:27]
	s_and_saveexec_b64 s[26:27], s[2:3]
	s_cbranch_execz .LBB3_52
; %bb.51:
	v_lshl_add_u64 v[6:7], v[6:7], 3, s[8:9]
	v_mov_b32_e32 v5, 0
	v_lshl_add_u64 v[4:5], v[4:5], 3, v[6:7]
	global_load_dwordx2 v[4:5], v[4:5], off
	s_waitcnt vmcnt(0)
	ds_write_b64 v16, v[4:5] offset:2048
.LBB3_52:
	s_or_b64 exec, exec, s[26:27]
	v_or_b32_e32 v4, 0x200, v0
	v_cmp_le_u32_e32 vcc, s13, v4
	s_mov_b64 s[2:3], -1
	v_mov_b64_e32 v[6:7], s[18:19]
	s_and_saveexec_b64 s[18:19], vcc
; %bb.53:
	v_subrev_u32_e32 v4, s13, v4
	v_cmp_gt_u32_e32 vcc, s15, v4
	v_mov_b64_e32 v[6:7], s[20:21]
	s_orn2_b64 s[2:3], vcc, exec
; %bb.54:
	s_or_b64 exec, exec, s[18:19]
	s_and_saveexec_b64 s[18:19], s[2:3]
	s_cbranch_execz .LBB3_56
; %bb.55:
	v_lshl_add_u64 v[6:7], v[6:7], 3, s[8:9]
	v_mov_b32_e32 v5, 0
	v_lshl_add_u64 v[4:5], v[4:5], 3, v[6:7]
	global_load_dwordx2 v[4:5], v[4:5], off
	s_waitcnt vmcnt(0)
	ds_write_b64 v16, v[4:5] offset:4096
.LBB3_56:
	s_or_b64 exec, exec, s[18:19]
	v_or_b32_e32 v6, 0x300, v0
	v_cmp_le_u32_e32 vcc, s13, v6
                                        ; implicit-def: $vgpr16
                                        ; implicit-def: $vgpr4_vgpr5
	s_and_saveexec_b64 s[2:3], vcc
	s_xor_b64 s[2:3], exec, s[2:3]
	s_cbranch_execz .LBB3_60
; %bb.57:
	v_subrev_u32_e32 v6, s13, v6
	v_cmp_gt_u32_e32 vcc, s15, v6
	s_mov_b64 s[18:19], s[4:5]
                                        ; implicit-def: $vgpr16
                                        ; implicit-def: $vgpr4_vgpr5
	s_and_saveexec_b64 s[8:9], vcc
; %bb.58:
	v_mul_u32_u24_e32 v4, 6, v0
	s_movk_i32 s13, 0x1800
	v_mov_b32_e32 v7, 0
	v_add3_u32 v16, v2, v4, s13
	v_lshl_add_u64 v[4:5], v[6:7], 3, s[24:25]
	s_or_b64 s[18:19], s[4:5], exec
; %bb.59:
	s_or_b64 exec, exec, s[8:9]
	s_andn2_b64 s[4:5], s[4:5], exec
	s_and_b64 s[8:9], s[18:19], exec
	s_or_b64 s[4:5], s[4:5], s[8:9]
                                        ; implicit-def: $vgpr6
.LBB3_60:
	s_andn2_saveexec_b64 s[2:3], s[2:3]
; %bb.61:
	v_lshlrev_b32_e32 v4, 3, v6
	v_mov_b32_e32 v5, 0
	v_mul_u32_u24_e32 v6, 6, v0
	s_movk_i32 s8, 0x1800
	v_lshl_add_u64 v[4:5], s[22:23], 0, v[4:5]
	v_add3_u32 v16, v2, v6, s8
	s_or_b64 s[4:5], s[4:5], exec
; %bb.62:
	s_or_b64 exec, exec, s[2:3]
.LBB3_63:
	s_and_saveexec_b64 s[2:3], s[4:5]
	s_cbranch_execz .LBB3_65
; %bb.64:
	global_load_dwordx2 v[4:5], v[4:5], off
	s_waitcnt vmcnt(0)
	ds_write_b64 v16, v[4:5]
.LBB3_65:
	s_or_b64 exec, exec, s[2:3]
	s_and_b64 vcc, exec, s[0:1]
	v_add_u32_e32 v4, s14, v3
	s_waitcnt lgkmcnt(0)
	s_barrier
	s_cbranch_vccnz .LBB3_69
; %bb.66:
	v_lshlrev_b32_e32 v5, 3, v8
	v_lshlrev_b32_e32 v6, 3, v9
	;; [unrolled: 1-line block ×3, first 2 shown]
	ds_read_b64 v[16:17], v5
	ds_read_b64 v[18:19], v6
	;; [unrolled: 1-line block ×3, first 2 shown]
	v_mov_b32_e32 v5, 0
	v_lshl_add_u64 v[20:21], v[4:5], 3, s[10:11]
	s_mov_b64 s[0:1], -1
	s_waitcnt lgkmcnt(1)
	global_store_dwordx4 v[20:21], v[16:19], off
	s_waitcnt lgkmcnt(0)
	global_store_dwordx2 v[20:21], v[6:7], off offset:16
	s_cbranch_execz .LBB3_70
	s_branch .LBB3_79
.LBB3_67:
	s_andn2_saveexec_b64 s[2:3], s[2:3]
	s_cbranch_execz .LBB3_46
.LBB3_68:
	v_lshlrev_b32_e32 v4, 3, v0
	v_mov_b32_e32 v5, 0
	v_lshl_add_u64 v[4:5], s[22:23], 0, v[4:5]
	s_or_b64 s[26:27], s[26:27], exec
	s_or_b64 exec, exec, s[2:3]
	v_mad_u32_u24 v16, v0, 6, v2
	s_and_saveexec_b64 s[2:3], s[26:27]
	s_cbranch_execnz .LBB3_47
	s_branch .LBB3_48
.LBB3_69:
	s_mov_b64 s[0:1], 0
.LBB3_70:
	v_cmp_lt_u32_e32 vcc, v3, v11
	s_and_saveexec_b64 s[2:3], vcc
	s_cbranch_execz .LBB3_72
; %bb.71:
	v_lshlrev_b32_e32 v5, 3, v8
	ds_read_b64 v[6:7], v5
	v_mov_b32_e32 v5, 0
	v_lshl_add_u64 v[16:17], v[4:5], 3, s[10:11]
	s_waitcnt lgkmcnt(0)
	global_store_dwordx2 v[16:17], v[6:7], off
.LBB3_72:
	s_or_b64 exec, exec, s[2:3]
	v_or_b32_e32 v5, 1, v3
	v_cmp_lt_u32_e32 vcc, v5, v11
	s_and_saveexec_b64 s[2:3], vcc
	s_cbranch_execz .LBB3_74
; %bb.73:
	v_lshlrev_b32_e32 v5, 3, v9
	ds_read_b64 v[6:7], v5
	v_mov_b32_e32 v5, 0
	v_lshl_add_u64 v[8:9], v[4:5], 3, s[10:11]
	s_waitcnt lgkmcnt(0)
	global_store_dwordx2 v[8:9], v[6:7], off offset:8
.LBB3_74:
	s_or_b64 exec, exec, s[2:3]
	v_or_b32_e32 v5, 2, v3
	v_cmp_lt_u32_e32 vcc, v5, v11
	s_and_saveexec_b64 s[2:3], vcc
	s_cbranch_execz .LBB3_76
; %bb.75:
	v_lshlrev_b32_e32 v5, 3, v14
	ds_read_b64 v[6:7], v5
	v_mov_b32_e32 v5, 0
	v_lshl_add_u64 v[8:9], v[4:5], 3, s[10:11]
	s_waitcnt lgkmcnt(0)
	global_store_dwordx2 v[8:9], v[6:7], off offset:16
.LBB3_76:
	s_or_b64 exec, exec, s[2:3]
	v_or_b32_e32 v5, 3, v3
	v_cmp_lt_u32_e32 vcc, v5, v11
	s_and_saveexec_b64 s[2:3], vcc
; %bb.77:
	v_mov_b32_e32 v5, 0
	s_or_b64 s[0:1], s[0:1], exec
; %bb.78:
	s_or_b64 exec, exec, s[2:3]
.LBB3_79:
	s_and_saveexec_b64 s[2:3], s[0:1]
	s_cbranch_execz .LBB3_81
; %bb.80:
	v_lshlrev_b32_e32 v6, 3, v15
	ds_read_b64 v[6:7], v6
	v_lshl_add_u64 v[4:5], v[4:5], 3, s[10:11]
	s_waitcnt lgkmcnt(0)
	global_store_dwordx2 v[4:5], v[6:7], off offset:24
.LBB3_81:
	s_or_b64 exec, exec, s[2:3]
	v_lshrrev_b32_e32 v4, 3, v0
	v_and_b32_e32 v4, 30, v4
	s_mov_b32 s2, 0x5040100
	v_add_lshl_u32 v3, v4, v3, 1
	v_perm_b32 v4, v13, v12, s2
	v_perm_b32 v1, v10, v1, s2
	s_barrier
	s_barrier
	ds_write2_b32 v3, v1, v4 offset1:1
	v_lshrrev_b32_e32 v1, 4, v0
	v_and_b32_e32 v1, 12, v1
	v_or_b32_e32 v5, 0x100, v0
	v_add_u32_e32 v7, v2, v1
	v_lshrrev_b32_e32 v1, 4, v5
	v_and_b32_e32 v1, 28, v1
	v_or_b32_e32 v4, 0x200, v0
	v_add_u32_e32 v8, v2, v1
	v_lshrrev_b32_e32 v1, 4, v4
	v_and_b32_e32 v1, 44, v1
	s_mov_b32 s15, 0
	v_add_u32_e32 v9, v2, v1
	v_or_b32_e32 v1, 0x300, v0
	s_lshl_b64 s[0:1], s[14:15], 1
	v_lshrrev_b32_e32 v3, 4, v1
	s_add_u32 s0, s6, s0
	v_and_b32_e32 v3, 60, v3
	s_addc_u32 s1, s7, s1
	v_add_u32_e32 v10, v2, v3
	v_mov_b32_e32 v3, 0
	v_lshl_add_u64 v[2:3], s[0:1], 0, v[2:3]
	s_and_b64 vcc, exec, s[16:17]
	s_waitcnt lgkmcnt(0)
	s_cbranch_vccz .LBB3_83
; %bb.82:
	s_barrier
	ds_read_u16 v11, v7
	ds_read_u16 v12, v8 offset:512
	ds_read_u16 v13, v9 offset:1024
	;; [unrolled: 1-line block ×3, first 2 shown]
	s_waitcnt lgkmcnt(3)
	global_store_short v[2:3], v11, off
	s_waitcnt lgkmcnt(2)
	global_store_short v[2:3], v12, off offset:512
	s_waitcnt lgkmcnt(1)
	global_store_short v[2:3], v13, off offset:1024
	s_mov_b64 s[0:1], -1
	s_cbranch_execz .LBB3_84
	s_branch .LBB3_89
.LBB3_83:
	s_mov_b64 s[0:1], 0
                                        ; implicit-def: $vgpr6
.LBB3_84:
	s_barrier
	s_waitcnt lgkmcnt(0)
	ds_read_u16 v11, v8 offset:512
	ds_read_u16 v8, v9 offset:1024
	;; [unrolled: 1-line block ×3, first 2 shown]
	s_sub_i32 s2, s12, s14
	v_cmp_gt_u32_e32 vcc, s2, v0
	s_and_saveexec_b64 s[0:1], vcc
	s_cbranch_execz .LBB3_92
; %bb.85:
	ds_read_u16 v0, v7
	s_waitcnt lgkmcnt(0)
	global_store_short v[2:3], v0, off
	s_or_b64 exec, exec, s[0:1]
	v_cmp_gt_u32_e32 vcc, s2, v5
	s_and_saveexec_b64 s[0:1], vcc
	s_cbranch_execnz .LBB3_93
.LBB3_86:
	s_or_b64 exec, exec, s[0:1]
	v_cmp_gt_u32_e32 vcc, s2, v4
	s_and_saveexec_b64 s[0:1], vcc
	s_cbranch_execz .LBB3_88
.LBB3_87:
	s_waitcnt lgkmcnt(1)
	global_store_short v[2:3], v8, off offset:1024
.LBB3_88:
	s_or_b64 exec, exec, s[0:1]
	v_cmp_gt_u32_e64 s[0:1], s2, v1
.LBB3_89:
	s_and_saveexec_b64 s[2:3], s[0:1]
	s_cbranch_execz .LBB3_91
; %bb.90:
	s_waitcnt lgkmcnt(0)
	global_store_short v[2:3], v6, off offset:1536
.LBB3_91:
	s_endpgm
.LBB3_92:
	s_or_b64 exec, exec, s[0:1]
	v_cmp_gt_u32_e32 vcc, s2, v5
	s_and_saveexec_b64 s[0:1], vcc
	s_cbranch_execz .LBB3_86
.LBB3_93:
	s_waitcnt lgkmcnt(2)
	global_store_short v[2:3], v11, off offset:512
	s_or_b64 exec, exec, s[0:1]
	v_cmp_gt_u32_e32 vcc, s2, v4
	s_and_saveexec_b64 s[0:1], vcc
	s_cbranch_execnz .LBB3_87
	s_branch .LBB3_88
	.section	.rodata,"a",@progbits
	.p2align	6, 0x0
	.amdhsa_kernel _ZN7rocprim17ROCPRIM_304000_NS6detail35device_block_merge_mergepath_kernelINS1_37wrapped_merge_sort_block_merge_configINS0_14default_configE12hip_bfloat16N2at4cuda3cub6detail10OpaqueTypeILi8EEEEEPS5_SD_PSB_SE_jNS1_19radix_merge_compareILb1ELb0ES5_NS0_19identity_decomposerEEEEEvT0_T1_T2_T3_T4_SM_jT5_PKSM_NS1_7vsmem_tE
		.amdhsa_group_segment_fixed_size 8208
		.amdhsa_private_segment_fixed_size 0
		.amdhsa_kernarg_size 320
		.amdhsa_user_sgpr_count 2
		.amdhsa_user_sgpr_dispatch_ptr 0
		.amdhsa_user_sgpr_queue_ptr 0
		.amdhsa_user_sgpr_kernarg_segment_ptr 1
		.amdhsa_user_sgpr_dispatch_id 0
		.amdhsa_user_sgpr_kernarg_preload_length 0
		.amdhsa_user_sgpr_kernarg_preload_offset 0
		.amdhsa_user_sgpr_private_segment_size 0
		.amdhsa_uses_dynamic_stack 0
		.amdhsa_enable_private_segment 0
		.amdhsa_system_sgpr_workgroup_id_x 1
		.amdhsa_system_sgpr_workgroup_id_y 1
		.amdhsa_system_sgpr_workgroup_id_z 1
		.amdhsa_system_sgpr_workgroup_info 0
		.amdhsa_system_vgpr_workitem_id 0
		.amdhsa_next_free_vgpr 26
		.amdhsa_next_free_sgpr 30
		.amdhsa_accum_offset 28
		.amdhsa_reserve_vcc 1
		.amdhsa_float_round_mode_32 0
		.amdhsa_float_round_mode_16_64 0
		.amdhsa_float_denorm_mode_32 3
		.amdhsa_float_denorm_mode_16_64 3
		.amdhsa_dx10_clamp 1
		.amdhsa_ieee_mode 1
		.amdhsa_fp16_overflow 0
		.amdhsa_tg_split 0
		.amdhsa_exception_fp_ieee_invalid_op 0
		.amdhsa_exception_fp_denorm_src 0
		.amdhsa_exception_fp_ieee_div_zero 0
		.amdhsa_exception_fp_ieee_overflow 0
		.amdhsa_exception_fp_ieee_underflow 0
		.amdhsa_exception_fp_ieee_inexact 0
		.amdhsa_exception_int_div_zero 0
	.end_amdhsa_kernel
	.section	.text._ZN7rocprim17ROCPRIM_304000_NS6detail35device_block_merge_mergepath_kernelINS1_37wrapped_merge_sort_block_merge_configINS0_14default_configE12hip_bfloat16N2at4cuda3cub6detail10OpaqueTypeILi8EEEEEPS5_SD_PSB_SE_jNS1_19radix_merge_compareILb1ELb0ES5_NS0_19identity_decomposerEEEEEvT0_T1_T2_T3_T4_SM_jT5_PKSM_NS1_7vsmem_tE,"axG",@progbits,_ZN7rocprim17ROCPRIM_304000_NS6detail35device_block_merge_mergepath_kernelINS1_37wrapped_merge_sort_block_merge_configINS0_14default_configE12hip_bfloat16N2at4cuda3cub6detail10OpaqueTypeILi8EEEEEPS5_SD_PSB_SE_jNS1_19radix_merge_compareILb1ELb0ES5_NS0_19identity_decomposerEEEEEvT0_T1_T2_T3_T4_SM_jT5_PKSM_NS1_7vsmem_tE,comdat
.Lfunc_end3:
	.size	_ZN7rocprim17ROCPRIM_304000_NS6detail35device_block_merge_mergepath_kernelINS1_37wrapped_merge_sort_block_merge_configINS0_14default_configE12hip_bfloat16N2at4cuda3cub6detail10OpaqueTypeILi8EEEEEPS5_SD_PSB_SE_jNS1_19radix_merge_compareILb1ELb0ES5_NS0_19identity_decomposerEEEEEvT0_T1_T2_T3_T4_SM_jT5_PKSM_NS1_7vsmem_tE, .Lfunc_end3-_ZN7rocprim17ROCPRIM_304000_NS6detail35device_block_merge_mergepath_kernelINS1_37wrapped_merge_sort_block_merge_configINS0_14default_configE12hip_bfloat16N2at4cuda3cub6detail10OpaqueTypeILi8EEEEEPS5_SD_PSB_SE_jNS1_19radix_merge_compareILb1ELb0ES5_NS0_19identity_decomposerEEEEEvT0_T1_T2_T3_T4_SM_jT5_PKSM_NS1_7vsmem_tE
                                        ; -- End function
	.section	.AMDGPU.csdata,"",@progbits
; Kernel info:
; codeLenInByte = 3596
; NumSgprs: 36
; NumVgprs: 26
; NumAgprs: 0
; TotalNumVgprs: 26
; ScratchSize: 0
; MemoryBound: 1
; FloatMode: 240
; IeeeMode: 1
; LDSByteSize: 8208 bytes/workgroup (compile time only)
; SGPRBlocks: 4
; VGPRBlocks: 3
; NumSGPRsForWavesPerEU: 36
; NumVGPRsForWavesPerEU: 26
; AccumOffset: 28
; Occupancy: 7
; WaveLimiterHint : 1
; COMPUTE_PGM_RSRC2:SCRATCH_EN: 0
; COMPUTE_PGM_RSRC2:USER_SGPR: 2
; COMPUTE_PGM_RSRC2:TRAP_HANDLER: 0
; COMPUTE_PGM_RSRC2:TGID_X_EN: 1
; COMPUTE_PGM_RSRC2:TGID_Y_EN: 1
; COMPUTE_PGM_RSRC2:TGID_Z_EN: 1
; COMPUTE_PGM_RSRC2:TIDIG_COMP_CNT: 0
; COMPUTE_PGM_RSRC3_GFX90A:ACCUM_OFFSET: 6
; COMPUTE_PGM_RSRC3_GFX90A:TG_SPLIT: 0
	.section	.text._ZN7rocprim17ROCPRIM_304000_NS6detail33device_block_merge_oddeven_kernelINS1_37wrapped_merge_sort_block_merge_configINS0_14default_configE12hip_bfloat16N2at4cuda3cub6detail10OpaqueTypeILi8EEEEEPS5_SD_PSB_SE_jNS1_19radix_merge_compareILb1ELb0ES5_NS0_19identity_decomposerEEEEEvT0_T1_T2_T3_T4_SM_T5_,"axG",@progbits,_ZN7rocprim17ROCPRIM_304000_NS6detail33device_block_merge_oddeven_kernelINS1_37wrapped_merge_sort_block_merge_configINS0_14default_configE12hip_bfloat16N2at4cuda3cub6detail10OpaqueTypeILi8EEEEEPS5_SD_PSB_SE_jNS1_19radix_merge_compareILb1ELb0ES5_NS0_19identity_decomposerEEEEEvT0_T1_T2_T3_T4_SM_T5_,comdat
	.protected	_ZN7rocprim17ROCPRIM_304000_NS6detail33device_block_merge_oddeven_kernelINS1_37wrapped_merge_sort_block_merge_configINS0_14default_configE12hip_bfloat16N2at4cuda3cub6detail10OpaqueTypeILi8EEEEEPS5_SD_PSB_SE_jNS1_19radix_merge_compareILb1ELb0ES5_NS0_19identity_decomposerEEEEEvT0_T1_T2_T3_T4_SM_T5_ ; -- Begin function _ZN7rocprim17ROCPRIM_304000_NS6detail33device_block_merge_oddeven_kernelINS1_37wrapped_merge_sort_block_merge_configINS0_14default_configE12hip_bfloat16N2at4cuda3cub6detail10OpaqueTypeILi8EEEEEPS5_SD_PSB_SE_jNS1_19radix_merge_compareILb1ELb0ES5_NS0_19identity_decomposerEEEEEvT0_T1_T2_T3_T4_SM_T5_
	.globl	_ZN7rocprim17ROCPRIM_304000_NS6detail33device_block_merge_oddeven_kernelINS1_37wrapped_merge_sort_block_merge_configINS0_14default_configE12hip_bfloat16N2at4cuda3cub6detail10OpaqueTypeILi8EEEEEPS5_SD_PSB_SE_jNS1_19radix_merge_compareILb1ELb0ES5_NS0_19identity_decomposerEEEEEvT0_T1_T2_T3_T4_SM_T5_
	.p2align	8
	.type	_ZN7rocprim17ROCPRIM_304000_NS6detail33device_block_merge_oddeven_kernelINS1_37wrapped_merge_sort_block_merge_configINS0_14default_configE12hip_bfloat16N2at4cuda3cub6detail10OpaqueTypeILi8EEEEEPS5_SD_PSB_SE_jNS1_19radix_merge_compareILb1ELb0ES5_NS0_19identity_decomposerEEEEEvT0_T1_T2_T3_T4_SM_T5_,@function
_ZN7rocprim17ROCPRIM_304000_NS6detail33device_block_merge_oddeven_kernelINS1_37wrapped_merge_sort_block_merge_configINS0_14default_configE12hip_bfloat16N2at4cuda3cub6detail10OpaqueTypeILi8EEEEEPS5_SD_PSB_SE_jNS1_19radix_merge_compareILb1ELb0ES5_NS0_19identity_decomposerEEEEEvT0_T1_T2_T3_T4_SM_T5_: ; @_ZN7rocprim17ROCPRIM_304000_NS6detail33device_block_merge_oddeven_kernelINS1_37wrapped_merge_sort_block_merge_configINS0_14default_configE12hip_bfloat16N2at4cuda3cub6detail10OpaqueTypeILi8EEEEEPS5_SD_PSB_SE_jNS1_19radix_merge_compareILb1ELb0ES5_NS0_19identity_decomposerEEEEEvT0_T1_T2_T3_T4_SM_T5_
; %bb.0:
	s_load_dwordx2 s[6:7], s[0:1], 0x20
	s_waitcnt lgkmcnt(0)
	s_lshr_b32 s3, s6, 8
	s_cmp_lg_u32 s2, s3
	s_cselect_b64 s[8:9], -1, 0
	s_cmp_eq_u32 s2, s3
	s_cselect_b64 s[16:17], -1, 0
	s_lshl_b32 s18, s2, 8
	s_sub_i32 s3, s6, s18
	v_cmp_gt_u32_e64 s[4:5], s3, v0
	s_or_b64 s[8:9], s[8:9], s[4:5]
	s_and_saveexec_b64 s[10:11], s[8:9]
	s_cbranch_execz .LBB4_26
; %bb.1:
	s_load_dwordx8 s[8:15], s[0:1], 0x0
	s_mov_b32 s19, 0
	s_lshl_b64 s[0:1], s[18:19], 1
	v_lshlrev_b32_e32 v4, 3, v0
	v_lshlrev_b32_e32 v1, 1, v0
	s_waitcnt lgkmcnt(0)
	s_add_u32 s0, s8, s0
	s_addc_u32 s1, s9, s1
	s_lshl_b64 s[20:21], s[18:19], 3
	s_add_u32 s12, s12, s20
	s_addc_u32 s13, s13, s21
	global_load_dwordx2 v[2:3], v4, s[12:13]
	global_load_ushort v6, v1, s[0:1]
	s_lshr_b32 s0, s7, 8
	s_sub_i32 s1, 0, s0
	s_and_b32 s1, s2, s1
	s_and_b32 s0, s1, s0
	s_lshl_b32 s21, s1, 8
	s_sub_i32 s12, 0, s7
	s_cmp_eq_u32 s0, 0
	s_cselect_b64 s[0:1], -1, 0
	s_and_b64 s[2:3], s[0:1], exec
	s_cselect_b32 s20, s7, s12
	s_add_i32 s20, s20, s21
	s_cmp_lt_u32 s20, s6
	v_add_u32_e32 v4, s18, v0
	s_cbranch_scc1 .LBB4_6
; %bb.2:
	s_and_b64 vcc, exec, s[16:17]
	s_cbranch_vccz .LBB4_7
; %bb.3:
	v_cmp_gt_u32_e32 vcc, s6, v4
	s_mov_b64 s[12:13], 0
	s_mov_b64 s[2:3], 0
                                        ; implicit-def: $vgpr0_vgpr1
	s_and_saveexec_b64 s[18:19], vcc
	s_cbranch_execz .LBB4_5
; %bb.4:
	v_mov_b32_e32 v5, 0
	s_mov_b64 s[2:3], exec
	v_lshl_add_u64 v[0:1], v[4:5], 3, s[14:15]
	v_lshl_add_u64 v[8:9], v[4:5], 1, s[10:11]
	s_waitcnt vmcnt(0)
	global_store_short v[8:9], v6, off
.LBB4_5:
	s_or_b64 exec, exec, s[18:19]
	s_and_b64 vcc, exec, s[12:13]
	s_cbranch_vccnz .LBB4_8
	s_branch .LBB4_9
.LBB4_6:
	s_mov_b64 s[2:3], 0
                                        ; implicit-def: $vgpr0_vgpr1
	s_cbranch_execnz .LBB4_10
	s_branch .LBB4_24
.LBB4_7:
	s_mov_b64 s[2:3], 0
                                        ; implicit-def: $vgpr0_vgpr1
	s_cbranch_execz .LBB4_9
.LBB4_8:
	v_mov_b32_e32 v5, 0
	v_lshl_add_u64 v[0:1], v[4:5], 1, s[10:11]
	s_waitcnt vmcnt(0)
	global_store_short v[0:1], v6, off
	v_lshl_add_u64 v[0:1], v[4:5], 3, s[14:15]
	s_or_b64 s[2:3], s[2:3], exec
.LBB4_9:
	s_branch .LBB4_24
.LBB4_10:
	s_min_u32 s12, s20, s6
	s_add_i32 s7, s12, s7
	s_min_u32 s13, s7, s6
	s_min_u32 s6, s21, s12
	s_add_i32 s21, s21, s12
	v_subrev_u32_e32 v0, s21, v4
	v_add_u32_e32 v4, s6, v0
	s_and_b64 vcc, exec, s[16:17]
	s_cbranch_vccz .LBB4_18
; %bb.11:
                                        ; implicit-def: $vgpr0_vgpr1
	s_and_saveexec_b64 s[6:7], s[4:5]
	s_cbranch_execz .LBB4_17
; %bb.12:
	s_cmp_ge_u32 s20, s13
	v_mov_b32_e32 v0, s12
	s_cbranch_scc1 .LBB4_16
; %bb.13:
	s_movk_i32 s16, 0x8000
	s_waitcnt vmcnt(0)
	v_cmp_ne_u16_e32 vcc, s16, v6
	v_mov_b32_e32 v1, 0xffff8000
	s_mov_b64 s[4:5], 0
	v_cndmask_b32_e32 v0, 0, v6, vcc
	v_cmp_lt_i16_e32 vcc, -1, v0
	v_mov_b32_e32 v7, s13
	s_nop 0
	v_cndmask_b32_e32 v5, -1, v1, vcc
	v_xor_b32_e32 v5, v5, v0
	v_mov_b32_e32 v0, s12
.LBB4_14:                               ; =>This Inner Loop Header: Depth=1
	v_add_u32_e32 v8, v0, v7
	v_and_b32_e32 v9, -2, v8
	global_load_ushort v9, v9, s[8:9]
	v_lshrrev_b32_e32 v8, 1, v8
	v_add_u32_e32 v10, 1, v8
	s_waitcnt vmcnt(0)
	v_cmp_ne_u16_e32 vcc, s16, v9
	s_nop 1
	v_cndmask_b32_e32 v9, 0, v9, vcc
	v_cmp_lt_i16_e32 vcc, -1, v9
	s_nop 1
	v_cndmask_b32_e32 v11, -1, v1, vcc
	v_xor_b32_e32 v9, v11, v9
	v_cmp_gt_u16_e32 vcc, v9, v5
	s_nop 1
	v_cndmask_b32_e64 v11, 0, 1, vcc
	v_cmp_le_u16_e32 vcc, v5, v9
	s_nop 1
	v_cndmask_b32_e64 v9, 0, 1, vcc
	v_cndmask_b32_e64 v9, v9, v11, s[0:1]
	v_and_b32_e32 v9, 1, v9
	v_cmp_eq_u32_e32 vcc, 1, v9
	s_nop 1
	v_cndmask_b32_e32 v7, v8, v7, vcc
	v_cndmask_b32_e32 v0, v0, v10, vcc
	v_cmp_ge_u32_e32 vcc, v0, v7
	s_or_b64 s[4:5], vcc, s[4:5]
	s_andn2_b64 exec, exec, s[4:5]
	s_cbranch_execnz .LBB4_14
; %bb.15:
	s_or_b64 exec, exec, s[4:5]
.LBB4_16:
	v_add_u32_e32 v0, v0, v4
	v_mov_b32_e32 v1, 0
	v_lshl_add_u64 v[8:9], v[0:1], 1, s[10:11]
	s_waitcnt vmcnt(0)
	global_store_short v[8:9], v6, off
	v_lshl_add_u64 v[0:1], v[0:1], 3, s[14:15]
	s_or_b64 s[2:3], s[2:3], exec
.LBB4_17:
	s_or_b64 exec, exec, s[6:7]
	s_branch .LBB4_24
.LBB4_18:
                                        ; implicit-def: $vgpr0_vgpr1
	s_cbranch_execz .LBB4_24
; %bb.19:
	s_cmp_ge_u32 s20, s13
	v_mov_b32_e32 v0, s12
	s_cbranch_scc1 .LBB4_23
; %bb.20:
	s_movk_i32 s4, 0x8000
	s_waitcnt vmcnt(0)
	v_cmp_ne_u16_e32 vcc, s4, v6
	v_mov_b32_e32 v1, 0xffff8000
	s_mov_b64 s[2:3], 0
	v_cndmask_b32_e32 v0, 0, v6, vcc
	v_cmp_lt_i16_e32 vcc, -1, v0
	v_mov_b32_e32 v7, s13
	s_nop 0
	v_cndmask_b32_e32 v5, -1, v1, vcc
	v_xor_b32_e32 v5, v5, v0
	v_mov_b32_e32 v0, s12
.LBB4_21:                               ; =>This Inner Loop Header: Depth=1
	v_add_u32_e32 v8, v0, v7
	v_and_b32_e32 v9, -2, v8
	global_load_ushort v9, v9, s[8:9]
	v_lshrrev_b32_e32 v8, 1, v8
	v_add_u32_e32 v10, 1, v8
	s_waitcnt vmcnt(0)
	v_cmp_ne_u16_e32 vcc, s4, v9
	s_nop 1
	v_cndmask_b32_e32 v9, 0, v9, vcc
	v_cmp_lt_i16_e32 vcc, -1, v9
	s_nop 1
	v_cndmask_b32_e32 v11, -1, v1, vcc
	v_xor_b32_e32 v9, v11, v9
	v_cmp_gt_u16_e32 vcc, v9, v5
	s_nop 1
	v_cndmask_b32_e64 v11, 0, 1, vcc
	v_cmp_le_u16_e32 vcc, v5, v9
	s_nop 1
	v_cndmask_b32_e64 v9, 0, 1, vcc
	v_cndmask_b32_e64 v9, v9, v11, s[0:1]
	v_and_b32_e32 v9, 1, v9
	v_cmp_eq_u32_e32 vcc, 1, v9
	s_nop 1
	v_cndmask_b32_e32 v7, v8, v7, vcc
	v_cndmask_b32_e32 v0, v0, v10, vcc
	v_cmp_ge_u32_e32 vcc, v0, v7
	s_or_b64 s[2:3], vcc, s[2:3]
	s_andn2_b64 exec, exec, s[2:3]
	s_cbranch_execnz .LBB4_21
; %bb.22:
	s_or_b64 exec, exec, s[2:3]
.LBB4_23:
	v_add_u32_e32 v0, v0, v4
	v_mov_b32_e32 v1, 0
	v_lshl_add_u64 v[4:5], v[0:1], 1, s[10:11]
	v_lshl_add_u64 v[0:1], v[0:1], 3, s[14:15]
	s_mov_b64 s[2:3], -1
	s_waitcnt vmcnt(0)
	global_store_short v[4:5], v6, off
.LBB4_24:
	s_and_b64 exec, exec, s[2:3]
	s_cbranch_execz .LBB4_26
; %bb.25:
	s_waitcnt vmcnt(1)
	global_store_dwordx2 v[0:1], v[2:3], off
.LBB4_26:
	s_endpgm
	.section	.rodata,"a",@progbits
	.p2align	6, 0x0
	.amdhsa_kernel _ZN7rocprim17ROCPRIM_304000_NS6detail33device_block_merge_oddeven_kernelINS1_37wrapped_merge_sort_block_merge_configINS0_14default_configE12hip_bfloat16N2at4cuda3cub6detail10OpaqueTypeILi8EEEEEPS5_SD_PSB_SE_jNS1_19radix_merge_compareILb1ELb0ES5_NS0_19identity_decomposerEEEEEvT0_T1_T2_T3_T4_SM_T5_
		.amdhsa_group_segment_fixed_size 0
		.amdhsa_private_segment_fixed_size 0
		.amdhsa_kernarg_size 44
		.amdhsa_user_sgpr_count 2
		.amdhsa_user_sgpr_dispatch_ptr 0
		.amdhsa_user_sgpr_queue_ptr 0
		.amdhsa_user_sgpr_kernarg_segment_ptr 1
		.amdhsa_user_sgpr_dispatch_id 0
		.amdhsa_user_sgpr_kernarg_preload_length 0
		.amdhsa_user_sgpr_kernarg_preload_offset 0
		.amdhsa_user_sgpr_private_segment_size 0
		.amdhsa_uses_dynamic_stack 0
		.amdhsa_enable_private_segment 0
		.amdhsa_system_sgpr_workgroup_id_x 1
		.amdhsa_system_sgpr_workgroup_id_y 0
		.amdhsa_system_sgpr_workgroup_id_z 0
		.amdhsa_system_sgpr_workgroup_info 0
		.amdhsa_system_vgpr_workitem_id 0
		.amdhsa_next_free_vgpr 12
		.amdhsa_next_free_sgpr 22
		.amdhsa_accum_offset 12
		.amdhsa_reserve_vcc 1
		.amdhsa_float_round_mode_32 0
		.amdhsa_float_round_mode_16_64 0
		.amdhsa_float_denorm_mode_32 3
		.amdhsa_float_denorm_mode_16_64 3
		.amdhsa_dx10_clamp 1
		.amdhsa_ieee_mode 1
		.amdhsa_fp16_overflow 0
		.amdhsa_tg_split 0
		.amdhsa_exception_fp_ieee_invalid_op 0
		.amdhsa_exception_fp_denorm_src 0
		.amdhsa_exception_fp_ieee_div_zero 0
		.amdhsa_exception_fp_ieee_overflow 0
		.amdhsa_exception_fp_ieee_underflow 0
		.amdhsa_exception_fp_ieee_inexact 0
		.amdhsa_exception_int_div_zero 0
	.end_amdhsa_kernel
	.section	.text._ZN7rocprim17ROCPRIM_304000_NS6detail33device_block_merge_oddeven_kernelINS1_37wrapped_merge_sort_block_merge_configINS0_14default_configE12hip_bfloat16N2at4cuda3cub6detail10OpaqueTypeILi8EEEEEPS5_SD_PSB_SE_jNS1_19radix_merge_compareILb1ELb0ES5_NS0_19identity_decomposerEEEEEvT0_T1_T2_T3_T4_SM_T5_,"axG",@progbits,_ZN7rocprim17ROCPRIM_304000_NS6detail33device_block_merge_oddeven_kernelINS1_37wrapped_merge_sort_block_merge_configINS0_14default_configE12hip_bfloat16N2at4cuda3cub6detail10OpaqueTypeILi8EEEEEPS5_SD_PSB_SE_jNS1_19radix_merge_compareILb1ELb0ES5_NS0_19identity_decomposerEEEEEvT0_T1_T2_T3_T4_SM_T5_,comdat
.Lfunc_end4:
	.size	_ZN7rocprim17ROCPRIM_304000_NS6detail33device_block_merge_oddeven_kernelINS1_37wrapped_merge_sort_block_merge_configINS0_14default_configE12hip_bfloat16N2at4cuda3cub6detail10OpaqueTypeILi8EEEEEPS5_SD_PSB_SE_jNS1_19radix_merge_compareILb1ELb0ES5_NS0_19identity_decomposerEEEEEvT0_T1_T2_T3_T4_SM_T5_, .Lfunc_end4-_ZN7rocprim17ROCPRIM_304000_NS6detail33device_block_merge_oddeven_kernelINS1_37wrapped_merge_sort_block_merge_configINS0_14default_configE12hip_bfloat16N2at4cuda3cub6detail10OpaqueTypeILi8EEEEEPS5_SD_PSB_SE_jNS1_19radix_merge_compareILb1ELb0ES5_NS0_19identity_decomposerEEEEEvT0_T1_T2_T3_T4_SM_T5_
                                        ; -- End function
	.section	.AMDGPU.csdata,"",@progbits
; Kernel info:
; codeLenInByte = 880
; NumSgprs: 28
; NumVgprs: 12
; NumAgprs: 0
; TotalNumVgprs: 12
; ScratchSize: 0
; MemoryBound: 0
; FloatMode: 240
; IeeeMode: 1
; LDSByteSize: 0 bytes/workgroup (compile time only)
; SGPRBlocks: 3
; VGPRBlocks: 1
; NumSGPRsForWavesPerEU: 28
; NumVGPRsForWavesPerEU: 12
; AccumOffset: 12
; Occupancy: 8
; WaveLimiterHint : 0
; COMPUTE_PGM_RSRC2:SCRATCH_EN: 0
; COMPUTE_PGM_RSRC2:USER_SGPR: 2
; COMPUTE_PGM_RSRC2:TRAP_HANDLER: 0
; COMPUTE_PGM_RSRC2:TGID_X_EN: 1
; COMPUTE_PGM_RSRC2:TGID_Y_EN: 0
; COMPUTE_PGM_RSRC2:TGID_Z_EN: 0
; COMPUTE_PGM_RSRC2:TIDIG_COMP_CNT: 0
; COMPUTE_PGM_RSRC3_GFX90A:ACCUM_OFFSET: 2
; COMPUTE_PGM_RSRC3_GFX90A:TG_SPLIT: 0
	.section	.text._ZN7rocprim17ROCPRIM_304000_NS6detail16transform_kernelINS1_24wrapped_transform_configINS0_14default_configE12hip_bfloat16EES5_PS5_S7_NS0_8identityIS5_EEEEvT1_mT2_T3_,"axG",@progbits,_ZN7rocprim17ROCPRIM_304000_NS6detail16transform_kernelINS1_24wrapped_transform_configINS0_14default_configE12hip_bfloat16EES5_PS5_S7_NS0_8identityIS5_EEEEvT1_mT2_T3_,comdat
	.protected	_ZN7rocprim17ROCPRIM_304000_NS6detail16transform_kernelINS1_24wrapped_transform_configINS0_14default_configE12hip_bfloat16EES5_PS5_S7_NS0_8identityIS5_EEEEvT1_mT2_T3_ ; -- Begin function _ZN7rocprim17ROCPRIM_304000_NS6detail16transform_kernelINS1_24wrapped_transform_configINS0_14default_configE12hip_bfloat16EES5_PS5_S7_NS0_8identityIS5_EEEEvT1_mT2_T3_
	.globl	_ZN7rocprim17ROCPRIM_304000_NS6detail16transform_kernelINS1_24wrapped_transform_configINS0_14default_configE12hip_bfloat16EES5_PS5_S7_NS0_8identityIS5_EEEEvT1_mT2_T3_
	.p2align	8
	.type	_ZN7rocprim17ROCPRIM_304000_NS6detail16transform_kernelINS1_24wrapped_transform_configINS0_14default_configE12hip_bfloat16EES5_PS5_S7_NS0_8identityIS5_EEEEvT1_mT2_T3_,@function
_ZN7rocprim17ROCPRIM_304000_NS6detail16transform_kernelINS1_24wrapped_transform_configINS0_14default_configE12hip_bfloat16EES5_PS5_S7_NS0_8identityIS5_EEEEvT1_mT2_T3_: ; @_ZN7rocprim17ROCPRIM_304000_NS6detail16transform_kernelINS1_24wrapped_transform_configINS0_14default_configE12hip_bfloat16EES5_PS5_S7_NS0_8identityIS5_EEEEvT1_mT2_T3_
; %bb.0:
	s_load_dword s3, s[0:1], 0x20
	s_load_dwordx4 s[4:7], s[0:1], 0x0
	s_load_dwordx2 s[28:29], s[0:1], 0x10
	s_lshl_b32 s0, s2, 11
	s_mov_b32 s1, 0
	s_waitcnt lgkmcnt(0)
	s_add_i32 s3, s3, -1
	s_lshl_b64 s[30:31], s[0:1], 1
	s_add_u32 s4, s4, s30
	s_addc_u32 s5, s5, s31
	v_mov_b32_e32 v3, 0
	v_lshlrev_b32_e32 v2, 1, v0
	s_cmp_lg_u32 s2, s3
	v_lshl_add_u64 v[4:5], s[4:5], 0, v[2:3]
	s_cbranch_scc0 .LBB5_2
; %bb.1:
	global_load_ushort v1, v[4:5], off
	global_load_ushort v3, v[4:5], off offset:256
	global_load_ushort v6, v[4:5], off offset:512
	;; [unrolled: 1-line block ×15, first 2 shown]
	s_add_u32 s4, s28, s30
	s_addc_u32 s5, s29, s31
	s_mov_b64 s[34:35], -1
	s_waitcnt vmcnt(15)
	global_store_short v2, v1, s[4:5]
	s_waitcnt vmcnt(15)
	global_store_short v2, v3, s[4:5] offset:256
	s_waitcnt vmcnt(15)
	global_store_short v2, v6, s[4:5] offset:512
	;; [unrolled: 2-line block ×14, first 2 shown]
	s_cbranch_execz .LBB5_3
	s_branch .LBB5_52
.LBB5_2:
	s_mov_b64 s[34:35], 0
                                        ; implicit-def: $vgpr8
.LBB5_3:
	s_sub_i32 s33, s6, s0
	v_cmp_gt_u32_e32 vcc, s33, v0
                                        ; implicit-def: $vgpr6
	s_and_saveexec_b64 s[0:1], vcc
	s_cbranch_execz .LBB5_5
; %bb.4:
	global_load_ushort v6, v[4:5], off
.LBB5_5:
	s_or_b64 exec, exec, s[0:1]
	v_or_b32_e32 v1, 0x80, v0
	v_cmp_gt_u32_e64 s[0:1], s33, v1
                                        ; implicit-def: $vgpr7
	s_and_saveexec_b64 s[2:3], s[0:1]
	s_cbranch_execz .LBB5_7
; %bb.6:
	global_load_ushort v7, v[4:5], off offset:256
.LBB5_7:
	s_or_b64 exec, exec, s[2:3]
	v_or_b32_e32 v1, 0x100, v0
	v_cmp_gt_u32_e64 s[2:3], s33, v1
                                        ; implicit-def: $vgpr9
	s_and_saveexec_b64 s[4:5], s[2:3]
	s_cbranch_execz .LBB5_9
; %bb.8:
	global_load_ushort v9, v[4:5], off offset:512
.LBB5_9:
	s_or_b64 exec, exec, s[4:5]
	v_or_b32_e32 v1, 0x180, v0
	v_cmp_gt_u32_e64 s[4:5], s33, v1
                                        ; implicit-def: $vgpr10
	s_and_saveexec_b64 s[6:7], s[4:5]
	s_cbranch_execz .LBB5_11
; %bb.10:
	global_load_ushort v10, v[4:5], off offset:768
.LBB5_11:
	s_or_b64 exec, exec, s[6:7]
	v_or_b32_e32 v1, 0x200, v0
	v_cmp_gt_u32_e64 s[6:7], s33, v1
                                        ; implicit-def: $vgpr11
	s_and_saveexec_b64 s[8:9], s[6:7]
	s_cbranch_execz .LBB5_13
; %bb.12:
	global_load_ushort v11, v[4:5], off offset:1024
.LBB5_13:
	s_or_b64 exec, exec, s[8:9]
	v_or_b32_e32 v1, 0x280, v0
	v_cmp_gt_u32_e64 s[8:9], s33, v1
                                        ; implicit-def: $vgpr12
	s_and_saveexec_b64 s[10:11], s[8:9]
	s_cbranch_execz .LBB5_15
; %bb.14:
	global_load_ushort v12, v[4:5], off offset:1280
.LBB5_15:
	s_or_b64 exec, exec, s[10:11]
	v_or_b32_e32 v1, 0x300, v0
	v_cmp_gt_u32_e64 s[10:11], s33, v1
                                        ; implicit-def: $vgpr13
	s_and_saveexec_b64 s[12:13], s[10:11]
	s_cbranch_execz .LBB5_17
; %bb.16:
	global_load_ushort v13, v[4:5], off offset:1536
.LBB5_17:
	s_or_b64 exec, exec, s[12:13]
	v_or_b32_e32 v1, 0x380, v0
	v_cmp_gt_u32_e64 s[12:13], s33, v1
                                        ; implicit-def: $vgpr14
	s_and_saveexec_b64 s[14:15], s[12:13]
	s_cbranch_execz .LBB5_19
; %bb.18:
	global_load_ushort v14, v[4:5], off offset:1792
.LBB5_19:
	s_or_b64 exec, exec, s[14:15]
	v_or_b32_e32 v1, 0x400, v0
	v_cmp_gt_u32_e64 s[14:15], s33, v1
                                        ; implicit-def: $vgpr15
	s_and_saveexec_b64 s[16:17], s[14:15]
	s_cbranch_execz .LBB5_21
; %bb.20:
	global_load_ushort v15, v[4:5], off offset:2048
.LBB5_21:
	s_or_b64 exec, exec, s[16:17]
	v_or_b32_e32 v1, 0x480, v0
	v_cmp_gt_u32_e64 s[16:17], s33, v1
                                        ; implicit-def: $vgpr16
	s_and_saveexec_b64 s[18:19], s[16:17]
	s_cbranch_execz .LBB5_23
; %bb.22:
	global_load_ushort v16, v[4:5], off offset:2304
.LBB5_23:
	s_or_b64 exec, exec, s[18:19]
	v_or_b32_e32 v1, 0x500, v0
	v_cmp_gt_u32_e64 s[18:19], s33, v1
                                        ; implicit-def: $vgpr17
	s_and_saveexec_b64 s[20:21], s[18:19]
	s_cbranch_execz .LBB5_25
; %bb.24:
	global_load_ushort v17, v[4:5], off offset:2560
.LBB5_25:
	s_or_b64 exec, exec, s[20:21]
	v_or_b32_e32 v1, 0x580, v0
	v_cmp_gt_u32_e64 s[20:21], s33, v1
                                        ; implicit-def: $vgpr18
	s_and_saveexec_b64 s[22:23], s[20:21]
	s_cbranch_execz .LBB5_27
; %bb.26:
	global_load_ushort v18, v[4:5], off offset:2816
.LBB5_27:
	s_or_b64 exec, exec, s[22:23]
	v_or_b32_e32 v1, 0x600, v0
	v_cmp_gt_u32_e64 s[22:23], s33, v1
                                        ; implicit-def: $vgpr19
	s_and_saveexec_b64 s[24:25], s[22:23]
	s_cbranch_execz .LBB5_29
; %bb.28:
	global_load_ushort v19, v[4:5], off offset:3072
.LBB5_29:
	s_or_b64 exec, exec, s[24:25]
	v_or_b32_e32 v1, 0x680, v0
	v_cmp_gt_u32_e64 s[24:25], s33, v1
                                        ; implicit-def: $vgpr20
	s_and_saveexec_b64 s[26:27], s[24:25]
	s_cbranch_execz .LBB5_31
; %bb.30:
	global_load_ushort v20, v[4:5], off offset:3328
.LBB5_31:
	s_or_b64 exec, exec, s[26:27]
	v_or_b32_e32 v1, 0x700, v0
	v_cmp_gt_u32_e64 s[26:27], s33, v1
                                        ; implicit-def: $vgpr21
	s_and_saveexec_b64 s[34:35], s[26:27]
	s_cbranch_execz .LBB5_33
; %bb.32:
	global_load_ushort v21, v[4:5], off offset:3584
.LBB5_33:
	s_or_b64 exec, exec, s[34:35]
	v_or_b32_e32 v0, 0x780, v0
	v_cmp_gt_u32_e64 s[34:35], s33, v0
                                        ; implicit-def: $vgpr8
	s_and_saveexec_b64 s[36:37], s[34:35]
	s_cbranch_execz .LBB5_35
; %bb.34:
	global_load_ushort v8, v[4:5], off offset:3840
.LBB5_35:
	s_or_b64 exec, exec, s[36:37]
	s_add_u32 s36, s28, s30
	s_addc_u32 s37, s29, s31
	v_mov_b32_e32 v3, 0
	v_lshl_add_u64 v[0:1], s[36:37], 0, v[2:3]
	s_and_saveexec_b64 s[36:37], vcc
	s_xor_b64 s[36:37], exec, s[36:37]
	s_cbranch_execnz .LBB5_55
; %bb.36:
	s_or_b64 exec, exec, s[36:37]
	s_and_saveexec_b64 s[36:37], s[0:1]
	s_cbranch_execnz .LBB5_56
.LBB5_37:
	s_or_b64 exec, exec, s[36:37]
	s_and_saveexec_b64 s[0:1], s[2:3]
	s_cbranch_execnz .LBB5_57
.LBB5_38:
	s_or_b64 exec, exec, s[0:1]
	s_and_saveexec_b64 s[0:1], s[4:5]
	s_cbranch_execnz .LBB5_58
.LBB5_39:
	s_or_b64 exec, exec, s[0:1]
	s_and_saveexec_b64 s[0:1], s[6:7]
	s_cbranch_execnz .LBB5_59
.LBB5_40:
	s_or_b64 exec, exec, s[0:1]
	s_and_saveexec_b64 s[0:1], s[8:9]
	s_cbranch_execnz .LBB5_60
.LBB5_41:
	s_or_b64 exec, exec, s[0:1]
	s_and_saveexec_b64 s[0:1], s[10:11]
	s_cbranch_execnz .LBB5_61
.LBB5_42:
	s_or_b64 exec, exec, s[0:1]
	s_and_saveexec_b64 s[0:1], s[12:13]
	s_cbranch_execnz .LBB5_62
.LBB5_43:
	s_or_b64 exec, exec, s[0:1]
	s_and_saveexec_b64 s[0:1], s[14:15]
	s_cbranch_execnz .LBB5_63
.LBB5_44:
	s_or_b64 exec, exec, s[0:1]
	s_and_saveexec_b64 s[0:1], s[16:17]
	s_cbranch_execnz .LBB5_64
.LBB5_45:
	s_or_b64 exec, exec, s[0:1]
	s_and_saveexec_b64 s[0:1], s[18:19]
	s_cbranch_execnz .LBB5_65
.LBB5_46:
	s_or_b64 exec, exec, s[0:1]
	s_and_saveexec_b64 s[0:1], s[20:21]
	s_cbranch_execnz .LBB5_66
.LBB5_47:
	s_or_b64 exec, exec, s[0:1]
	s_and_saveexec_b64 s[0:1], s[22:23]
	s_cbranch_execnz .LBB5_67
.LBB5_48:
	s_or_b64 exec, exec, s[0:1]
	s_and_saveexec_b64 s[0:1], s[24:25]
	s_cbranch_execnz .LBB5_68
.LBB5_49:
	s_or_b64 exec, exec, s[0:1]
	s_and_saveexec_b64 s[0:1], s[26:27]
	s_cbranch_execz .LBB5_51
.LBB5_50:
	s_waitcnt vmcnt(0)
	global_store_short v[0:1], v21, off offset:3584
.LBB5_51:
	s_or_b64 exec, exec, s[0:1]
.LBB5_52:
	s_and_saveexec_b64 s[0:1], s[34:35]
	s_cbranch_execnz .LBB5_54
; %bb.53:
	s_endpgm
.LBB5_54:
	s_add_u32 s0, s28, s30
	s_addc_u32 s1, s29, s31
	s_waitcnt vmcnt(0)
	global_store_short v2, v8, s[0:1] offset:3840
	s_endpgm
.LBB5_55:
	s_waitcnt vmcnt(0)
	global_store_short v[0:1], v6, off
	s_or_b64 exec, exec, s[36:37]
	s_and_saveexec_b64 s[36:37], s[0:1]
	s_cbranch_execz .LBB5_37
.LBB5_56:
	s_waitcnt vmcnt(0)
	global_store_short v[0:1], v7, off offset:256
	s_or_b64 exec, exec, s[36:37]
	s_and_saveexec_b64 s[0:1], s[2:3]
	s_cbranch_execz .LBB5_38
.LBB5_57:
	s_waitcnt vmcnt(0)
	global_store_short v[0:1], v9, off offset:512
	s_or_b64 exec, exec, s[0:1]
	s_and_saveexec_b64 s[0:1], s[4:5]
	s_cbranch_execz .LBB5_39
.LBB5_58:
	s_waitcnt vmcnt(0)
	global_store_short v[0:1], v10, off offset:768
	s_or_b64 exec, exec, s[0:1]
	s_and_saveexec_b64 s[0:1], s[6:7]
	s_cbranch_execz .LBB5_40
.LBB5_59:
	s_waitcnt vmcnt(0)
	global_store_short v[0:1], v11, off offset:1024
	s_or_b64 exec, exec, s[0:1]
	s_and_saveexec_b64 s[0:1], s[8:9]
	s_cbranch_execz .LBB5_41
.LBB5_60:
	s_waitcnt vmcnt(0)
	global_store_short v[0:1], v12, off offset:1280
	s_or_b64 exec, exec, s[0:1]
	s_and_saveexec_b64 s[0:1], s[10:11]
	s_cbranch_execz .LBB5_42
.LBB5_61:
	s_waitcnt vmcnt(0)
	global_store_short v[0:1], v13, off offset:1536
	s_or_b64 exec, exec, s[0:1]
	s_and_saveexec_b64 s[0:1], s[12:13]
	s_cbranch_execz .LBB5_43
.LBB5_62:
	s_waitcnt vmcnt(0)
	global_store_short v[0:1], v14, off offset:1792
	s_or_b64 exec, exec, s[0:1]
	s_and_saveexec_b64 s[0:1], s[14:15]
	s_cbranch_execz .LBB5_44
.LBB5_63:
	s_waitcnt vmcnt(0)
	global_store_short v[0:1], v15, off offset:2048
	s_or_b64 exec, exec, s[0:1]
	s_and_saveexec_b64 s[0:1], s[16:17]
	s_cbranch_execz .LBB5_45
.LBB5_64:
	s_waitcnt vmcnt(0)
	global_store_short v[0:1], v16, off offset:2304
	s_or_b64 exec, exec, s[0:1]
	s_and_saveexec_b64 s[0:1], s[18:19]
	s_cbranch_execz .LBB5_46
.LBB5_65:
	s_waitcnt vmcnt(0)
	global_store_short v[0:1], v17, off offset:2560
	s_or_b64 exec, exec, s[0:1]
	s_and_saveexec_b64 s[0:1], s[20:21]
	s_cbranch_execz .LBB5_47
.LBB5_66:
	s_waitcnt vmcnt(0)
	global_store_short v[0:1], v18, off offset:2816
	s_or_b64 exec, exec, s[0:1]
	s_and_saveexec_b64 s[0:1], s[22:23]
	s_cbranch_execz .LBB5_48
.LBB5_67:
	s_waitcnt vmcnt(0)
	global_store_short v[0:1], v19, off offset:3072
	s_or_b64 exec, exec, s[0:1]
	s_and_saveexec_b64 s[0:1], s[24:25]
	s_cbranch_execz .LBB5_49
.LBB5_68:
	s_waitcnt vmcnt(0)
	global_store_short v[0:1], v20, off offset:3328
	s_or_b64 exec, exec, s[0:1]
	s_and_saveexec_b64 s[0:1], s[26:27]
	s_cbranch_execnz .LBB5_50
	s_branch .LBB5_51
	.section	.rodata,"a",@progbits
	.p2align	6, 0x0
	.amdhsa_kernel _ZN7rocprim17ROCPRIM_304000_NS6detail16transform_kernelINS1_24wrapped_transform_configINS0_14default_configE12hip_bfloat16EES5_PS5_S7_NS0_8identityIS5_EEEEvT1_mT2_T3_
		.amdhsa_group_segment_fixed_size 0
		.amdhsa_private_segment_fixed_size 0
		.amdhsa_kernarg_size 288
		.amdhsa_user_sgpr_count 2
		.amdhsa_user_sgpr_dispatch_ptr 0
		.amdhsa_user_sgpr_queue_ptr 0
		.amdhsa_user_sgpr_kernarg_segment_ptr 1
		.amdhsa_user_sgpr_dispatch_id 0
		.amdhsa_user_sgpr_kernarg_preload_length 0
		.amdhsa_user_sgpr_kernarg_preload_offset 0
		.amdhsa_user_sgpr_private_segment_size 0
		.amdhsa_uses_dynamic_stack 0
		.amdhsa_enable_private_segment 0
		.amdhsa_system_sgpr_workgroup_id_x 1
		.amdhsa_system_sgpr_workgroup_id_y 0
		.amdhsa_system_sgpr_workgroup_id_z 0
		.amdhsa_system_sgpr_workgroup_info 0
		.amdhsa_system_vgpr_workitem_id 0
		.amdhsa_next_free_vgpr 22
		.amdhsa_next_free_sgpr 38
		.amdhsa_accum_offset 24
		.amdhsa_reserve_vcc 1
		.amdhsa_float_round_mode_32 0
		.amdhsa_float_round_mode_16_64 0
		.amdhsa_float_denorm_mode_32 3
		.amdhsa_float_denorm_mode_16_64 3
		.amdhsa_dx10_clamp 1
		.amdhsa_ieee_mode 1
		.amdhsa_fp16_overflow 0
		.amdhsa_tg_split 0
		.amdhsa_exception_fp_ieee_invalid_op 0
		.amdhsa_exception_fp_denorm_src 0
		.amdhsa_exception_fp_ieee_div_zero 0
		.amdhsa_exception_fp_ieee_overflow 0
		.amdhsa_exception_fp_ieee_underflow 0
		.amdhsa_exception_fp_ieee_inexact 0
		.amdhsa_exception_int_div_zero 0
	.end_amdhsa_kernel
	.section	.text._ZN7rocprim17ROCPRIM_304000_NS6detail16transform_kernelINS1_24wrapped_transform_configINS0_14default_configE12hip_bfloat16EES5_PS5_S7_NS0_8identityIS5_EEEEvT1_mT2_T3_,"axG",@progbits,_ZN7rocprim17ROCPRIM_304000_NS6detail16transform_kernelINS1_24wrapped_transform_configINS0_14default_configE12hip_bfloat16EES5_PS5_S7_NS0_8identityIS5_EEEEvT1_mT2_T3_,comdat
.Lfunc_end5:
	.size	_ZN7rocprim17ROCPRIM_304000_NS6detail16transform_kernelINS1_24wrapped_transform_configINS0_14default_configE12hip_bfloat16EES5_PS5_S7_NS0_8identityIS5_EEEEvT1_mT2_T3_, .Lfunc_end5-_ZN7rocprim17ROCPRIM_304000_NS6detail16transform_kernelINS1_24wrapped_transform_configINS0_14default_configE12hip_bfloat16EES5_PS5_S7_NS0_8identityIS5_EEEEvT1_mT2_T3_
                                        ; -- End function
	.section	.AMDGPU.csdata,"",@progbits
; Kernel info:
; codeLenInByte = 1568
; NumSgprs: 44
; NumVgprs: 22
; NumAgprs: 0
; TotalNumVgprs: 22
; ScratchSize: 0
; MemoryBound: 0
; FloatMode: 240
; IeeeMode: 1
; LDSByteSize: 0 bytes/workgroup (compile time only)
; SGPRBlocks: 5
; VGPRBlocks: 2
; NumSGPRsForWavesPerEU: 44
; NumVGPRsForWavesPerEU: 22
; AccumOffset: 24
; Occupancy: 8
; WaveLimiterHint : 1
; COMPUTE_PGM_RSRC2:SCRATCH_EN: 0
; COMPUTE_PGM_RSRC2:USER_SGPR: 2
; COMPUTE_PGM_RSRC2:TRAP_HANDLER: 0
; COMPUTE_PGM_RSRC2:TGID_X_EN: 1
; COMPUTE_PGM_RSRC2:TGID_Y_EN: 0
; COMPUTE_PGM_RSRC2:TGID_Z_EN: 0
; COMPUTE_PGM_RSRC2:TIDIG_COMP_CNT: 0
; COMPUTE_PGM_RSRC3_GFX90A:ACCUM_OFFSET: 5
; COMPUTE_PGM_RSRC3_GFX90A:TG_SPLIT: 0
	.section	.text._ZN7rocprim17ROCPRIM_304000_NS6detail16transform_kernelINS1_24wrapped_transform_configINS0_14default_configEN2at4cuda3cub6detail10OpaqueTypeILi8EEEEESA_PSA_SC_NS0_8identityISA_EEEEvT1_mT2_T3_,"axG",@progbits,_ZN7rocprim17ROCPRIM_304000_NS6detail16transform_kernelINS1_24wrapped_transform_configINS0_14default_configEN2at4cuda3cub6detail10OpaqueTypeILi8EEEEESA_PSA_SC_NS0_8identityISA_EEEEvT1_mT2_T3_,comdat
	.protected	_ZN7rocprim17ROCPRIM_304000_NS6detail16transform_kernelINS1_24wrapped_transform_configINS0_14default_configEN2at4cuda3cub6detail10OpaqueTypeILi8EEEEESA_PSA_SC_NS0_8identityISA_EEEEvT1_mT2_T3_ ; -- Begin function _ZN7rocprim17ROCPRIM_304000_NS6detail16transform_kernelINS1_24wrapped_transform_configINS0_14default_configEN2at4cuda3cub6detail10OpaqueTypeILi8EEEEESA_PSA_SC_NS0_8identityISA_EEEEvT1_mT2_T3_
	.globl	_ZN7rocprim17ROCPRIM_304000_NS6detail16transform_kernelINS1_24wrapped_transform_configINS0_14default_configEN2at4cuda3cub6detail10OpaqueTypeILi8EEEEESA_PSA_SC_NS0_8identityISA_EEEEvT1_mT2_T3_
	.p2align	8
	.type	_ZN7rocprim17ROCPRIM_304000_NS6detail16transform_kernelINS1_24wrapped_transform_configINS0_14default_configEN2at4cuda3cub6detail10OpaqueTypeILi8EEEEESA_PSA_SC_NS0_8identityISA_EEEEvT1_mT2_T3_,@function
_ZN7rocprim17ROCPRIM_304000_NS6detail16transform_kernelINS1_24wrapped_transform_configINS0_14default_configEN2at4cuda3cub6detail10OpaqueTypeILi8EEEEESA_PSA_SC_NS0_8identityISA_EEEEvT1_mT2_T3_: ; @_ZN7rocprim17ROCPRIM_304000_NS6detail16transform_kernelINS1_24wrapped_transform_configINS0_14default_configEN2at4cuda3cub6detail10OpaqueTypeILi8EEEEESA_PSA_SC_NS0_8identityISA_EEEEvT1_mT2_T3_
; %bb.0:
	s_load_dword s3, s[0:1], 0x20
	s_load_dwordx4 s[4:7], s[0:1], 0x0
	s_load_dwordx2 s[8:9], s[0:1], 0x10
	s_lshl_b32 s10, s2, 9
	s_mov_b32 s11, 0
	s_waitcnt lgkmcnt(0)
	s_add_i32 s3, s3, -1
	s_lshl_b64 s[0:1], s[10:11], 3
	s_add_u32 s4, s4, s0
	s_addc_u32 s5, s5, s1
	v_mov_b32_e32 v3, 0
	v_lshlrev_b32_e32 v2, 3, v0
	s_cmp_lg_u32 s2, s3
	v_lshl_add_u64 v[6:7], s[4:5], 0, v[2:3]
	s_cbranch_scc0 .LBB6_2
; %bb.1:
	global_load_dwordx2 v[8:9], v[6:7], off
	global_load_dwordx2 v[4:5], v[6:7], off offset:2048
	s_add_u32 s2, s8, s0
	s_addc_u32 s3, s9, s1
	s_waitcnt vmcnt(1)
	global_store_dwordx2 v2, v[8:9], s[2:3]
	s_mov_b64 s[2:3], -1
	s_cbranch_execz .LBB6_3
	s_branch .LBB6_10
.LBB6_2:
	s_mov_b64 s[2:3], 0
                                        ; implicit-def: $vgpr4_vgpr5
.LBB6_3:
	s_sub_i32 s4, s6, s10
	v_cmp_gt_u32_e32 vcc, s4, v0
                                        ; implicit-def: $vgpr8_vgpr9
	s_and_saveexec_b64 s[2:3], vcc
	s_cbranch_execz .LBB6_5
; %bb.4:
	global_load_dwordx2 v[8:9], v[6:7], off
.LBB6_5:
	s_or_b64 exec, exec, s[2:3]
	v_or_b32_e32 v0, 0x100, v0
	v_cmp_gt_u32_e64 s[2:3], s4, v0
                                        ; implicit-def: $vgpr4_vgpr5
	s_and_saveexec_b64 s[4:5], s[2:3]
	s_cbranch_execz .LBB6_7
; %bb.6:
	global_load_dwordx2 v[4:5], v[6:7], off offset:2048
.LBB6_7:
	s_or_b64 exec, exec, s[4:5]
	s_and_saveexec_b64 s[4:5], vcc
	s_xor_b64 s[4:5], exec, s[4:5]
	s_cbranch_execz .LBB6_9
; %bb.8:
	s_add_u32 s6, s8, s0
	s_addc_u32 s7, s9, s1
	s_waitcnt vmcnt(0)
	global_store_dwordx2 v2, v[8:9], s[6:7]
.LBB6_9:
	s_or_b64 exec, exec, s[4:5]
.LBB6_10:
	s_and_saveexec_b64 s[4:5], s[2:3]
	s_cbranch_execnz .LBB6_12
; %bb.11:
	s_endpgm
.LBB6_12:
	s_add_u32 s0, s8, s0
	s_addc_u32 s1, s9, s1
	s_waitcnt vmcnt(0)
	global_store_dwordx2 v2, v[4:5], s[0:1] offset:2048
	s_endpgm
	.section	.rodata,"a",@progbits
	.p2align	6, 0x0
	.amdhsa_kernel _ZN7rocprim17ROCPRIM_304000_NS6detail16transform_kernelINS1_24wrapped_transform_configINS0_14default_configEN2at4cuda3cub6detail10OpaqueTypeILi8EEEEESA_PSA_SC_NS0_8identityISA_EEEEvT1_mT2_T3_
		.amdhsa_group_segment_fixed_size 0
		.amdhsa_private_segment_fixed_size 0
		.amdhsa_kernarg_size 288
		.amdhsa_user_sgpr_count 2
		.amdhsa_user_sgpr_dispatch_ptr 0
		.amdhsa_user_sgpr_queue_ptr 0
		.amdhsa_user_sgpr_kernarg_segment_ptr 1
		.amdhsa_user_sgpr_dispatch_id 0
		.amdhsa_user_sgpr_kernarg_preload_length 0
		.amdhsa_user_sgpr_kernarg_preload_offset 0
		.amdhsa_user_sgpr_private_segment_size 0
		.amdhsa_uses_dynamic_stack 0
		.amdhsa_enable_private_segment 0
		.amdhsa_system_sgpr_workgroup_id_x 1
		.amdhsa_system_sgpr_workgroup_id_y 0
		.amdhsa_system_sgpr_workgroup_id_z 0
		.amdhsa_system_sgpr_workgroup_info 0
		.amdhsa_system_vgpr_workitem_id 0
		.amdhsa_next_free_vgpr 10
		.amdhsa_next_free_sgpr 12
		.amdhsa_accum_offset 12
		.amdhsa_reserve_vcc 1
		.amdhsa_float_round_mode_32 0
		.amdhsa_float_round_mode_16_64 0
		.amdhsa_float_denorm_mode_32 3
		.amdhsa_float_denorm_mode_16_64 3
		.amdhsa_dx10_clamp 1
		.amdhsa_ieee_mode 1
		.amdhsa_fp16_overflow 0
		.amdhsa_tg_split 0
		.amdhsa_exception_fp_ieee_invalid_op 0
		.amdhsa_exception_fp_denorm_src 0
		.amdhsa_exception_fp_ieee_div_zero 0
		.amdhsa_exception_fp_ieee_overflow 0
		.amdhsa_exception_fp_ieee_underflow 0
		.amdhsa_exception_fp_ieee_inexact 0
		.amdhsa_exception_int_div_zero 0
	.end_amdhsa_kernel
	.section	.text._ZN7rocprim17ROCPRIM_304000_NS6detail16transform_kernelINS1_24wrapped_transform_configINS0_14default_configEN2at4cuda3cub6detail10OpaqueTypeILi8EEEEESA_PSA_SC_NS0_8identityISA_EEEEvT1_mT2_T3_,"axG",@progbits,_ZN7rocprim17ROCPRIM_304000_NS6detail16transform_kernelINS1_24wrapped_transform_configINS0_14default_configEN2at4cuda3cub6detail10OpaqueTypeILi8EEEEESA_PSA_SC_NS0_8identityISA_EEEEvT1_mT2_T3_,comdat
.Lfunc_end6:
	.size	_ZN7rocprim17ROCPRIM_304000_NS6detail16transform_kernelINS1_24wrapped_transform_configINS0_14default_configEN2at4cuda3cub6detail10OpaqueTypeILi8EEEEESA_PSA_SC_NS0_8identityISA_EEEEvT1_mT2_T3_, .Lfunc_end6-_ZN7rocprim17ROCPRIM_304000_NS6detail16transform_kernelINS1_24wrapped_transform_configINS0_14default_configEN2at4cuda3cub6detail10OpaqueTypeILi8EEEEESA_PSA_SC_NS0_8identityISA_EEEEvT1_mT2_T3_
                                        ; -- End function
	.section	.AMDGPU.csdata,"",@progbits
; Kernel info:
; codeLenInByte = 264
; NumSgprs: 18
; NumVgprs: 10
; NumAgprs: 0
; TotalNumVgprs: 10
; ScratchSize: 0
; MemoryBound: 0
; FloatMode: 240
; IeeeMode: 1
; LDSByteSize: 0 bytes/workgroup (compile time only)
; SGPRBlocks: 2
; VGPRBlocks: 1
; NumSGPRsForWavesPerEU: 18
; NumVGPRsForWavesPerEU: 10
; AccumOffset: 12
; Occupancy: 8
; WaveLimiterHint : 1
; COMPUTE_PGM_RSRC2:SCRATCH_EN: 0
; COMPUTE_PGM_RSRC2:USER_SGPR: 2
; COMPUTE_PGM_RSRC2:TRAP_HANDLER: 0
; COMPUTE_PGM_RSRC2:TGID_X_EN: 1
; COMPUTE_PGM_RSRC2:TGID_Y_EN: 0
; COMPUTE_PGM_RSRC2:TGID_Z_EN: 0
; COMPUTE_PGM_RSRC2:TIDIG_COMP_CNT: 0
; COMPUTE_PGM_RSRC3_GFX90A:ACCUM_OFFSET: 2
; COMPUTE_PGM_RSRC3_GFX90A:TG_SPLIT: 0
	.section	.text._ZN7rocprim17ROCPRIM_304000_NS6detail26onesweep_histograms_kernelINS1_34wrapped_radix_sort_onesweep_configINS0_14default_configE12hip_bfloat16N2at4cuda3cub6detail10OpaqueTypeILi8EEEEELb1EPKS5_mNS0_19identity_decomposerEEEvT1_PT2_SH_SH_T3_jj,"axG",@progbits,_ZN7rocprim17ROCPRIM_304000_NS6detail26onesweep_histograms_kernelINS1_34wrapped_radix_sort_onesweep_configINS0_14default_configE12hip_bfloat16N2at4cuda3cub6detail10OpaqueTypeILi8EEEEELb1EPKS5_mNS0_19identity_decomposerEEEvT1_PT2_SH_SH_T3_jj,comdat
	.protected	_ZN7rocprim17ROCPRIM_304000_NS6detail26onesweep_histograms_kernelINS1_34wrapped_radix_sort_onesweep_configINS0_14default_configE12hip_bfloat16N2at4cuda3cub6detail10OpaqueTypeILi8EEEEELb1EPKS5_mNS0_19identity_decomposerEEEvT1_PT2_SH_SH_T3_jj ; -- Begin function _ZN7rocprim17ROCPRIM_304000_NS6detail26onesweep_histograms_kernelINS1_34wrapped_radix_sort_onesweep_configINS0_14default_configE12hip_bfloat16N2at4cuda3cub6detail10OpaqueTypeILi8EEEEELb1EPKS5_mNS0_19identity_decomposerEEEvT1_PT2_SH_SH_T3_jj
	.globl	_ZN7rocprim17ROCPRIM_304000_NS6detail26onesweep_histograms_kernelINS1_34wrapped_radix_sort_onesweep_configINS0_14default_configE12hip_bfloat16N2at4cuda3cub6detail10OpaqueTypeILi8EEEEELb1EPKS5_mNS0_19identity_decomposerEEEvT1_PT2_SH_SH_T3_jj
	.p2align	8
	.type	_ZN7rocprim17ROCPRIM_304000_NS6detail26onesweep_histograms_kernelINS1_34wrapped_radix_sort_onesweep_configINS0_14default_configE12hip_bfloat16N2at4cuda3cub6detail10OpaqueTypeILi8EEEEELb1EPKS5_mNS0_19identity_decomposerEEEvT1_PT2_SH_SH_T3_jj,@function
_ZN7rocprim17ROCPRIM_304000_NS6detail26onesweep_histograms_kernelINS1_34wrapped_radix_sort_onesweep_configINS0_14default_configE12hip_bfloat16N2at4cuda3cub6detail10OpaqueTypeILi8EEEEELb1EPKS5_mNS0_19identity_decomposerEEEvT1_PT2_SH_SH_T3_jj: ; @_ZN7rocprim17ROCPRIM_304000_NS6detail26onesweep_histograms_kernelINS1_34wrapped_radix_sort_onesweep_configINS0_14default_configE12hip_bfloat16N2at4cuda3cub6detail10OpaqueTypeILi8EEEEELb1EPKS5_mNS0_19identity_decomposerEEEvT1_PT2_SH_SH_T3_jj
; %bb.0:
	s_load_dwordx8 s[64:71], s[0:1], 0x0
	s_load_dwordx2 s[72:73], s[0:1], 0x24
	s_mov_b32 s3, 0
	s_lshl_b64 s[0:1], s[2:3], 16
	s_waitcnt lgkmcnt(0)
	v_mov_b64_e32 v[2:3], s[70:71]
	v_cmp_ge_u64_e32 vcc, s[2:3], v[2:3]
	s_add_u32 s74, s64, s0
	s_addc_u32 s75, s65, s1
	s_mov_b64 s[0:1], -1
	v_lshlrev_b32_e32 v2, 1, v0
	s_cbranch_vccz .LBB7_200
; %bb.1:
	s_lshl_b32 s0, s70, 15
	s_sub_i32 s33, s68, s0
	v_mov_b32_e32 v3, 0
	v_lshl_add_u64 v[4:5], s[74:75], 0, v[2:3]
	v_cmp_gt_u32_e64 s[64:65], s33, v0
                                        ; implicit-def: $vgpr1
	s_and_saveexec_b64 s[0:1], s[64:65]
	s_cbranch_execz .LBB7_3
; %bb.2:
	global_load_ushort v1, v[4:5], off
.LBB7_3:
	s_or_b64 exec, exec, s[0:1]
	v_or_b32_e32 v3, 0x400, v0
	v_cmp_gt_u32_e64 s[62:63], s33, v3
                                        ; implicit-def: $vgpr35
	s_and_saveexec_b64 s[0:1], s[62:63]
	s_cbranch_execz .LBB7_5
; %bb.4:
	global_load_ushort v35, v[4:5], off offset:2048
.LBB7_5:
	s_or_b64 exec, exec, s[0:1]
	v_or_b32_e32 v3, 0x800, v0
	v_cmp_gt_u32_e64 s[60:61], s33, v3
                                        ; implicit-def: $vgpr34
	s_and_saveexec_b64 s[0:1], s[60:61]
	s_cbranch_execz .LBB7_7
; %bb.6:
	v_add_co_u32_e32 v6, vcc, 0x1000, v4
	s_nop 1
	v_addc_co_u32_e32 v7, vcc, 0, v5, vcc
	global_load_ushort v34, v[6:7], off
.LBB7_7:
	s_or_b64 exec, exec, s[0:1]
	v_or_b32_e32 v3, 0xc00, v0
	v_cmp_gt_u32_e64 s[58:59], s33, v3
                                        ; implicit-def: $vgpr33
	s_and_saveexec_b64 s[0:1], s[58:59]
	s_cbranch_execz .LBB7_9
; %bb.8:
	v_add_co_u32_e32 v6, vcc, 0x1000, v4
	s_nop 1
	v_addc_co_u32_e32 v7, vcc, 0, v5, vcc
	global_load_ushort v33, v[6:7], off offset:2048
.LBB7_9:
	s_or_b64 exec, exec, s[0:1]
	v_or_b32_e32 v3, 0x1000, v0
	v_cmp_gt_u32_e64 s[56:57], s33, v3
                                        ; implicit-def: $vgpr32
	s_and_saveexec_b64 s[0:1], s[56:57]
	s_cbranch_execz .LBB7_11
; %bb.10:
	v_add_co_u32_e32 v6, vcc, 0x2000, v4
	s_nop 1
	v_addc_co_u32_e32 v7, vcc, 0, v5, vcc
	global_load_ushort v32, v[6:7], off
.LBB7_11:
	s_or_b64 exec, exec, s[0:1]
	v_or_b32_e32 v3, 0x1400, v0
	v_cmp_gt_u32_e64 s[54:55], s33, v3
                                        ; implicit-def: $vgpr31
	s_and_saveexec_b64 s[0:1], s[54:55]
	s_cbranch_execz .LBB7_13
; %bb.12:
	v_add_co_u32_e32 v6, vcc, 0x2000, v4
	s_nop 1
	v_addc_co_u32_e32 v7, vcc, 0, v5, vcc
	global_load_ushort v31, v[6:7], off offset:2048
.LBB7_13:
	s_or_b64 exec, exec, s[0:1]
	v_or_b32_e32 v3, 0x1800, v0
	v_cmp_gt_u32_e64 s[52:53], s33, v3
                                        ; implicit-def: $vgpr30
	s_and_saveexec_b64 s[0:1], s[52:53]
	s_cbranch_execz .LBB7_15
; %bb.14:
	v_add_co_u32_e32 v6, vcc, 0x3000, v4
	s_nop 1
	v_addc_co_u32_e32 v7, vcc, 0, v5, vcc
	global_load_ushort v30, v[6:7], off
.LBB7_15:
	s_or_b64 exec, exec, s[0:1]
	v_or_b32_e32 v3, 0x1c00, v0
	v_cmp_gt_u32_e64 s[50:51], s33, v3
                                        ; implicit-def: $vgpr29
	s_and_saveexec_b64 s[0:1], s[50:51]
	s_cbranch_execz .LBB7_17
; %bb.16:
	v_add_co_u32_e32 v6, vcc, 0x3000, v4
	s_nop 1
	v_addc_co_u32_e32 v7, vcc, 0, v5, vcc
	global_load_ushort v29, v[6:7], off offset:2048
.LBB7_17:
	s_or_b64 exec, exec, s[0:1]
	v_or_b32_e32 v3, 0x2000, v0
	v_cmp_gt_u32_e64 s[48:49], s33, v3
                                        ; implicit-def: $vgpr28
	s_and_saveexec_b64 s[0:1], s[48:49]
	s_cbranch_execz .LBB7_19
; %bb.18:
	v_add_co_u32_e32 v6, vcc, 0x4000, v4
	s_nop 1
	v_addc_co_u32_e32 v7, vcc, 0, v5, vcc
	global_load_ushort v28, v[6:7], off
.LBB7_19:
	s_or_b64 exec, exec, s[0:1]
	v_or_b32_e32 v3, 0x2400, v0
	v_cmp_gt_u32_e64 s[46:47], s33, v3
                                        ; implicit-def: $vgpr27
	s_and_saveexec_b64 s[0:1], s[46:47]
	s_cbranch_execz .LBB7_21
; %bb.20:
	v_add_co_u32_e32 v6, vcc, 0x4000, v4
	s_nop 1
	v_addc_co_u32_e32 v7, vcc, 0, v5, vcc
	global_load_ushort v27, v[6:7], off offset:2048
.LBB7_21:
	s_or_b64 exec, exec, s[0:1]
	v_or_b32_e32 v3, 0x2800, v0
	v_cmp_gt_u32_e64 s[44:45], s33, v3
                                        ; implicit-def: $vgpr26
	s_and_saveexec_b64 s[0:1], s[44:45]
	s_cbranch_execz .LBB7_23
; %bb.22:
	v_add_co_u32_e32 v6, vcc, 0x5000, v4
	s_nop 1
	v_addc_co_u32_e32 v7, vcc, 0, v5, vcc
	global_load_ushort v26, v[6:7], off
.LBB7_23:
	s_or_b64 exec, exec, s[0:1]
	v_or_b32_e32 v3, 0x2c00, v0
	v_cmp_gt_u32_e64 s[42:43], s33, v3
                                        ; implicit-def: $vgpr25
	s_and_saveexec_b64 s[0:1], s[42:43]
	s_cbranch_execz .LBB7_25
; %bb.24:
	v_add_co_u32_e32 v6, vcc, 0x5000, v4
	s_nop 1
	v_addc_co_u32_e32 v7, vcc, 0, v5, vcc
	global_load_ushort v25, v[6:7], off offset:2048
.LBB7_25:
	s_or_b64 exec, exec, s[0:1]
	v_or_b32_e32 v3, 0x3000, v0
	v_cmp_gt_u32_e64 s[40:41], s33, v3
                                        ; implicit-def: $vgpr24
	s_and_saveexec_b64 s[0:1], s[40:41]
	s_cbranch_execz .LBB7_27
; %bb.26:
	v_add_co_u32_e32 v6, vcc, 0x6000, v4
	s_nop 1
	v_addc_co_u32_e32 v7, vcc, 0, v5, vcc
	global_load_ushort v24, v[6:7], off
.LBB7_27:
	s_or_b64 exec, exec, s[0:1]
	v_or_b32_e32 v3, 0x3400, v0
	v_cmp_gt_u32_e64 s[38:39], s33, v3
                                        ; implicit-def: $vgpr23
	s_and_saveexec_b64 s[0:1], s[38:39]
	s_cbranch_execz .LBB7_29
; %bb.28:
	v_add_co_u32_e32 v6, vcc, 0x6000, v4
	s_nop 1
	v_addc_co_u32_e32 v7, vcc, 0, v5, vcc
	global_load_ushort v23, v[6:7], off offset:2048
.LBB7_29:
	s_or_b64 exec, exec, s[0:1]
	v_or_b32_e32 v3, 0x3800, v0
	v_cmp_gt_u32_e64 s[36:37], s33, v3
                                        ; implicit-def: $vgpr22
	s_and_saveexec_b64 s[0:1], s[36:37]
	s_cbranch_execz .LBB7_31
; %bb.30:
	v_add_co_u32_e32 v6, vcc, 0x7000, v4
	s_nop 1
	v_addc_co_u32_e32 v7, vcc, 0, v5, vcc
	global_load_ushort v22, v[6:7], off
.LBB7_31:
	s_or_b64 exec, exec, s[0:1]
	v_or_b32_e32 v3, 0x3c00, v0
	v_cmp_gt_u32_e64 s[34:35], s33, v3
                                        ; implicit-def: $vgpr21
	s_and_saveexec_b64 s[0:1], s[34:35]
	s_cbranch_execz .LBB7_33
; %bb.32:
	v_add_co_u32_e32 v6, vcc, 0x7000, v4
	s_nop 1
	v_addc_co_u32_e32 v7, vcc, 0, v5, vcc
	global_load_ushort v21, v[6:7], off offset:2048
.LBB7_33:
	s_or_b64 exec, exec, s[0:1]
	v_or_b32_e32 v3, 0x4000, v0
	v_cmp_gt_u32_e64 s[30:31], s33, v3
                                        ; implicit-def: $vgpr20
	s_and_saveexec_b64 s[0:1], s[30:31]
	s_cbranch_execz .LBB7_35
; %bb.34:
	v_add_co_u32_e32 v6, vcc, 0x8000, v4
	s_nop 1
	v_addc_co_u32_e32 v7, vcc, 0, v5, vcc
	global_load_ushort v20, v[6:7], off
.LBB7_35:
	s_or_b64 exec, exec, s[0:1]
	v_or_b32_e32 v3, 0x4400, v0
	v_cmp_gt_u32_e64 s[28:29], s33, v3
                                        ; implicit-def: $vgpr19
	s_and_saveexec_b64 s[0:1], s[28:29]
	s_cbranch_execz .LBB7_37
; %bb.36:
	v_add_co_u32_e32 v6, vcc, 0x8000, v4
	s_nop 1
	v_addc_co_u32_e32 v7, vcc, 0, v5, vcc
	global_load_ushort v19, v[6:7], off offset:2048
.LBB7_37:
	s_or_b64 exec, exec, s[0:1]
	v_or_b32_e32 v3, 0x4800, v0
	v_cmp_gt_u32_e64 s[26:27], s33, v3
                                        ; implicit-def: $vgpr18
	s_and_saveexec_b64 s[0:1], s[26:27]
	s_cbranch_execz .LBB7_39
; %bb.38:
	v_add_co_u32_e32 v6, vcc, 0x9000, v4
	s_nop 1
	v_addc_co_u32_e32 v7, vcc, 0, v5, vcc
	global_load_ushort v18, v[6:7], off
.LBB7_39:
	s_or_b64 exec, exec, s[0:1]
	v_or_b32_e32 v3, 0x4c00, v0
	v_cmp_gt_u32_e64 s[24:25], s33, v3
                                        ; implicit-def: $vgpr17
	s_and_saveexec_b64 s[0:1], s[24:25]
	s_cbranch_execz .LBB7_41
; %bb.40:
	v_add_co_u32_e32 v6, vcc, 0x9000, v4
	s_nop 1
	v_addc_co_u32_e32 v7, vcc, 0, v5, vcc
	global_load_ushort v17, v[6:7], off offset:2048
.LBB7_41:
	s_or_b64 exec, exec, s[0:1]
	v_or_b32_e32 v3, 0x5000, v0
	v_cmp_gt_u32_e64 s[22:23], s33, v3
                                        ; implicit-def: $vgpr16
	s_and_saveexec_b64 s[0:1], s[22:23]
	s_cbranch_execz .LBB7_43
; %bb.42:
	v_add_co_u32_e32 v6, vcc, 0xa000, v4
	s_nop 1
	v_addc_co_u32_e32 v7, vcc, 0, v5, vcc
	global_load_ushort v16, v[6:7], off
.LBB7_43:
	s_or_b64 exec, exec, s[0:1]
	v_or_b32_e32 v3, 0x5400, v0
	v_cmp_gt_u32_e64 s[20:21], s33, v3
                                        ; implicit-def: $vgpr15
	s_and_saveexec_b64 s[0:1], s[20:21]
	s_cbranch_execz .LBB7_45
; %bb.44:
	v_add_co_u32_e32 v6, vcc, 0xa000, v4
	s_nop 1
	v_addc_co_u32_e32 v7, vcc, 0, v5, vcc
	global_load_ushort v15, v[6:7], off offset:2048
.LBB7_45:
	s_or_b64 exec, exec, s[0:1]
	v_or_b32_e32 v3, 0x5800, v0
	v_cmp_gt_u32_e64 s[18:19], s33, v3
                                        ; implicit-def: $vgpr14
	s_and_saveexec_b64 s[0:1], s[18:19]
	s_cbranch_execz .LBB7_47
; %bb.46:
	v_add_co_u32_e32 v6, vcc, 0xb000, v4
	s_nop 1
	v_addc_co_u32_e32 v7, vcc, 0, v5, vcc
	global_load_ushort v14, v[6:7], off
.LBB7_47:
	s_or_b64 exec, exec, s[0:1]
	v_or_b32_e32 v3, 0x5c00, v0
	v_cmp_gt_u32_e64 s[16:17], s33, v3
                                        ; implicit-def: $vgpr13
	s_and_saveexec_b64 s[0:1], s[16:17]
	s_cbranch_execz .LBB7_49
; %bb.48:
	v_add_co_u32_e32 v6, vcc, 0xb000, v4
	s_nop 1
	v_addc_co_u32_e32 v7, vcc, 0, v5, vcc
	global_load_ushort v13, v[6:7], off offset:2048
.LBB7_49:
	s_or_b64 exec, exec, s[0:1]
	v_or_b32_e32 v3, 0x6000, v0
	v_cmp_gt_u32_e64 s[14:15], s33, v3
                                        ; implicit-def: $vgpr12
	s_and_saveexec_b64 s[0:1], s[14:15]
	s_cbranch_execz .LBB7_51
; %bb.50:
	v_add_co_u32_e32 v6, vcc, 0xc000, v4
	s_nop 1
	v_addc_co_u32_e32 v7, vcc, 0, v5, vcc
	global_load_ushort v12, v[6:7], off
.LBB7_51:
	s_or_b64 exec, exec, s[0:1]
	v_or_b32_e32 v3, 0x6400, v0
	v_cmp_gt_u32_e64 s[12:13], s33, v3
                                        ; implicit-def: $vgpr11
	s_and_saveexec_b64 s[0:1], s[12:13]
	s_cbranch_execz .LBB7_53
; %bb.52:
	v_add_co_u32_e32 v6, vcc, 0xc000, v4
	s_nop 1
	v_addc_co_u32_e32 v7, vcc, 0, v5, vcc
	global_load_ushort v11, v[6:7], off offset:2048
.LBB7_53:
	s_or_b64 exec, exec, s[0:1]
	v_or_b32_e32 v3, 0x6800, v0
	v_cmp_gt_u32_e64 s[10:11], s33, v3
                                        ; implicit-def: $vgpr10
	s_and_saveexec_b64 s[0:1], s[10:11]
	s_cbranch_execz .LBB7_55
; %bb.54:
	v_add_co_u32_e32 v6, vcc, 0xd000, v4
	s_nop 1
	v_addc_co_u32_e32 v7, vcc, 0, v5, vcc
	global_load_ushort v10, v[6:7], off
.LBB7_55:
	s_or_b64 exec, exec, s[0:1]
	v_or_b32_e32 v3, 0x6c00, v0
	v_cmp_gt_u32_e64 s[8:9], s33, v3
                                        ; implicit-def: $vgpr9
	s_and_saveexec_b64 s[0:1], s[8:9]
	s_cbranch_execz .LBB7_57
; %bb.56:
	v_add_co_u32_e32 v6, vcc, 0xd000, v4
	s_nop 1
	v_addc_co_u32_e32 v7, vcc, 0, v5, vcc
	global_load_ushort v9, v[6:7], off offset:2048
.LBB7_57:
	s_or_b64 exec, exec, s[0:1]
	v_or_b32_e32 v3, 0x7000, v0
	v_cmp_gt_u32_e64 s[6:7], s33, v3
                                        ; implicit-def: $vgpr8
	s_and_saveexec_b64 s[0:1], s[6:7]
	s_cbranch_execz .LBB7_59
; %bb.58:
	v_add_co_u32_e32 v6, vcc, 0xe000, v4
	s_nop 1
	v_addc_co_u32_e32 v7, vcc, 0, v5, vcc
	global_load_ushort v8, v[6:7], off
.LBB7_59:
	s_or_b64 exec, exec, s[0:1]
	v_or_b32_e32 v3, 0x7400, v0
	v_cmp_gt_u32_e64 s[4:5], s33, v3
                                        ; implicit-def: $vgpr7
	s_and_saveexec_b64 s[0:1], s[4:5]
	s_cbranch_execz .LBB7_61
; %bb.60:
	v_add_co_u32_e32 v6, vcc, 0xe000, v4
	s_nop 1
	v_addc_co_u32_e32 v7, vcc, 0, v5, vcc
	global_load_ushort v7, v[6:7], off offset:2048
.LBB7_61:
	s_or_b64 exec, exec, s[0:1]
	v_or_b32_e32 v3, 0x7800, v0
	v_cmp_gt_u32_e64 s[2:3], s33, v3
                                        ; implicit-def: $vgpr6
	s_and_saveexec_b64 s[0:1], s[2:3]
	s_cbranch_execz .LBB7_63
; %bb.62:
	v_add_co_u32_e32 v36, vcc, 0xf000, v4
	s_nop 1
	v_addc_co_u32_e32 v37, vcc, 0, v5, vcc
	global_load_ushort v6, v[36:37], off
.LBB7_63:
	s_or_b64 exec, exec, s[0:1]
	v_or_b32_e32 v3, 0x7c00, v0
	v_cmp_gt_u32_e64 s[0:1], s33, v3
                                        ; implicit-def: $vgpr3
	s_and_saveexec_b64 s[68:69], s[0:1]
	s_cbranch_execz .LBB7_65
; %bb.64:
	v_add_co_u32_e32 v4, vcc, 0xf000, v4
	s_nop 1
	v_addc_co_u32_e32 v5, vcc, 0, v5, vcc
	global_load_ushort v3, v[4:5], off offset:2048
.LBB7_65:
	s_or_b64 exec, exec, s[68:69]
	s_cmp_gt_u32 s73, s72
	v_lshlrev_b32_e32 v4, 2, v0
	v_mov_b32_e32 v5, 0
	s_cselect_b64 s[68:69], -1, 0
	s_cmp_le_u32 s73, s72
	ds_write2st64_b32 v4, v5, v5 offset1:16
	s_waitcnt lgkmcnt(0)
	s_barrier
	s_cbranch_scc1 .LBB7_194
; %bb.66:
	v_mov_b32_e32 v4, 0x7fff
	s_waitcnt vmcnt(0)
	v_cmp_gt_i16_e32 vcc, 0, v1
	s_movk_i32 s33, 0x8000
	v_and_b32_e32 v5, 3, v0
	v_cndmask_b32_e64 v36, v4, 0, vcc
	v_xor_b32_e32 v1, v36, v1
	v_cmp_ne_u16_e32 vcc, s33, v1
	s_sub_i32 s33, s73, s72
	s_mov_b32 s76, s33
	v_cndmask_b32_e32 v4, v4, v1, vcc
	v_lshlrev_b32_e32 v1, 2, v5
	v_mov_b32_e32 v5, 1
	v_mov_b32_e32 v36, v1
	s_mov_b32 s77, s72
	s_branch .LBB7_68
.LBB7_67:                               ;   in Loop: Header=BB7_68 Depth=1
	s_or_b64 exec, exec, s[70:71]
	s_add_i32 s77, s77, 8
	s_add_i32 s76, s76, -8
	s_cmp_ge_u32 s77, s73
	v_add_u32_e32 v36, 0x1000, v36
	s_cbranch_scc1 .LBB7_70
.LBB7_68:                               ; =>This Inner Loop Header: Depth=1
	s_and_saveexec_b64 s[70:71], s[64:65]
	s_cbranch_execz .LBB7_67
; %bb.69:                               ;   in Loop: Header=BB7_68 Depth=1
	s_min_u32 s78, s76, 8
	v_lshrrev_b32_sdwa v37, s77, v4 dst_sel:DWORD dst_unused:UNUSED_PAD src0_sel:DWORD src1_sel:WORD_0
	v_bfe_u32 v37, v37, 0, s78
	v_lshl_add_u32 v37, v37, 4, v36
	ds_add_u32 v37, v5
	s_branch .LBB7_67
.LBB7_70:
	v_mov_b32_e32 v4, 0x7fff
	v_cmp_gt_i16_e32 vcc, 0, v35
	s_movk_i32 s64, 0x8000
	s_mov_b32 s70, s33
	v_cndmask_b32_e64 v5, v4, 0, vcc
	v_xor_b32_e32 v5, v5, v35
	v_cmp_ne_u16_e32 vcc, s64, v5
	v_mov_b32_e32 v35, v1
	s_mov_b32 s71, s72
	v_cndmask_b32_e32 v4, v4, v5, vcc
	v_mov_b32_e32 v5, 1
	s_branch .LBB7_72
.LBB7_71:                               ;   in Loop: Header=BB7_72 Depth=1
	s_or_b64 exec, exec, s[64:65]
	s_add_i32 s71, s71, 8
	s_add_i32 s70, s70, -8
	s_cmp_lt_u32 s71, s73
	v_add_u32_e32 v35, 0x1000, v35
	s_cbranch_scc0 .LBB7_74
.LBB7_72:                               ; =>This Inner Loop Header: Depth=1
	s_and_saveexec_b64 s[64:65], s[62:63]
	s_cbranch_execz .LBB7_71
; %bb.73:                               ;   in Loop: Header=BB7_72 Depth=1
	s_min_u32 s76, s70, 8
	v_lshrrev_b32_sdwa v36, s71, v4 dst_sel:DWORD dst_unused:UNUSED_PAD src0_sel:DWORD src1_sel:WORD_0
	v_bfe_u32 v36, v36, 0, s76
	v_lshl_add_u32 v36, v36, 4, v35
	ds_add_u32 v36, v5
	s_branch .LBB7_71
.LBB7_74:
	v_mov_b32_e32 v4, 0x7fff
	v_cmp_gt_i16_e32 vcc, 0, v34
	s_movk_i32 s62, 0x8000
	s_mov_b32 s64, s33
	v_cndmask_b32_e64 v5, v4, 0, vcc
	v_xor_b32_e32 v5, v5, v34
	v_cmp_ne_u16_e32 vcc, s62, v5
	v_mov_b32_e32 v34, v1
	s_mov_b32 s65, s72
	v_cndmask_b32_e32 v4, v4, v5, vcc
	v_mov_b32_e32 v5, 1
	s_branch .LBB7_76
.LBB7_75:                               ;   in Loop: Header=BB7_76 Depth=1
	s_or_b64 exec, exec, s[62:63]
	s_add_i32 s65, s65, 8
	s_add_i32 s64, s64, -8
	s_cmp_lt_u32 s65, s73
	v_add_u32_e32 v34, 0x1000, v34
	s_cbranch_scc0 .LBB7_78
.LBB7_76:                               ; =>This Inner Loop Header: Depth=1
	s_and_saveexec_b64 s[62:63], s[60:61]
	s_cbranch_execz .LBB7_75
; %bb.77:                               ;   in Loop: Header=BB7_76 Depth=1
	s_min_u32 s70, s64, 8
	v_lshrrev_b32_sdwa v35, s65, v4 dst_sel:DWORD dst_unused:UNUSED_PAD src0_sel:DWORD src1_sel:WORD_0
	v_bfe_u32 v35, v35, 0, s70
	v_lshl_add_u32 v35, v35, 4, v34
	ds_add_u32 v35, v5
	s_branch .LBB7_75
.LBB7_78:
	;; [unrolled: 30-line block ×7, first 2 shown]
	v_mov_b32_e32 v4, 0x7fff
	v_cmp_gt_i16_e32 vcc, 0, v28
	s_movk_i32 s50, 0x8000
	s_mov_b32 s52, s33
	v_cndmask_b32_e64 v5, v4, 0, vcc
	v_xor_b32_e32 v5, v5, v28
	v_cmp_ne_u16_e32 vcc, s50, v5
	v_mov_b32_e32 v28, v1
	s_mov_b32 s53, s72
	v_cndmask_b32_e32 v4, v4, v5, vcc
	v_mov_b32_e32 v5, 1
	s_branch .LBB7_100
.LBB7_99:                               ;   in Loop: Header=BB7_100 Depth=1
	s_or_b64 exec, exec, s[50:51]
	s_add_i32 s53, s53, 8
	s_add_i32 s52, s52, -8
	s_cmp_lt_u32 s53, s73
	v_add_u32_e32 v28, 0x1000, v28
	s_cbranch_scc0 .LBB7_102
.LBB7_100:                              ; =>This Inner Loop Header: Depth=1
	s_and_saveexec_b64 s[50:51], s[48:49]
	s_cbranch_execz .LBB7_99
; %bb.101:                              ;   in Loop: Header=BB7_100 Depth=1
	s_min_u32 s54, s52, 8
	v_lshrrev_b32_sdwa v29, s53, v4 dst_sel:DWORD dst_unused:UNUSED_PAD src0_sel:DWORD src1_sel:WORD_0
	v_bfe_u32 v29, v29, 0, s54
	v_lshl_add_u32 v29, v29, 4, v28
	ds_add_u32 v29, v5
	s_branch .LBB7_99
.LBB7_102:
	v_mov_b32_e32 v4, 0x7fff
	v_cmp_gt_i16_e32 vcc, 0, v27
	s_movk_i32 s48, 0x8000
	s_mov_b32 s50, s33
	v_cndmask_b32_e64 v5, v4, 0, vcc
	v_xor_b32_e32 v5, v5, v27
	v_cmp_ne_u16_e32 vcc, s48, v5
	v_mov_b32_e32 v27, v1
	s_mov_b32 s51, s72
	v_cndmask_b32_e32 v4, v4, v5, vcc
	v_mov_b32_e32 v5, 1
	s_branch .LBB7_104
.LBB7_103:                              ;   in Loop: Header=BB7_104 Depth=1
	s_or_b64 exec, exec, s[48:49]
	s_add_i32 s51, s51, 8
	s_add_i32 s50, s50, -8
	s_cmp_lt_u32 s51, s73
	v_add_u32_e32 v27, 0x1000, v27
	s_cbranch_scc0 .LBB7_106
.LBB7_104:                              ; =>This Inner Loop Header: Depth=1
	s_and_saveexec_b64 s[48:49], s[46:47]
	s_cbranch_execz .LBB7_103
; %bb.105:                              ;   in Loop: Header=BB7_104 Depth=1
	s_min_u32 s52, s50, 8
	v_lshrrev_b32_sdwa v28, s51, v4 dst_sel:DWORD dst_unused:UNUSED_PAD src0_sel:DWORD src1_sel:WORD_0
	v_bfe_u32 v28, v28, 0, s52
	v_lshl_add_u32 v28, v28, 4, v27
	ds_add_u32 v28, v5
	s_branch .LBB7_103
.LBB7_106:
	v_mov_b32_e32 v4, 0x7fff
	v_cmp_gt_i16_e32 vcc, 0, v26
	s_movk_i32 s46, 0x8000
	s_mov_b32 s48, s33
	v_cndmask_b32_e64 v5, v4, 0, vcc
	v_xor_b32_e32 v5, v5, v26
	v_cmp_ne_u16_e32 vcc, s46, v5
	v_mov_b32_e32 v26, v1
	s_mov_b32 s49, s72
	v_cndmask_b32_e32 v4, v4, v5, vcc
	v_mov_b32_e32 v5, 1
	s_branch .LBB7_108
.LBB7_107:                              ;   in Loop: Header=BB7_108 Depth=1
	s_or_b64 exec, exec, s[46:47]
	s_add_i32 s49, s49, 8
	s_add_i32 s48, s48, -8
	s_cmp_lt_u32 s49, s73
	v_add_u32_e32 v26, 0x1000, v26
	s_cbranch_scc0 .LBB7_110
.LBB7_108:                              ; =>This Inner Loop Header: Depth=1
	s_and_saveexec_b64 s[46:47], s[44:45]
	s_cbranch_execz .LBB7_107
; %bb.109:                              ;   in Loop: Header=BB7_108 Depth=1
	s_min_u32 s50, s48, 8
	v_lshrrev_b32_sdwa v27, s49, v4 dst_sel:DWORD dst_unused:UNUSED_PAD src0_sel:DWORD src1_sel:WORD_0
	v_bfe_u32 v27, v27, 0, s50
	v_lshl_add_u32 v27, v27, 4, v26
	ds_add_u32 v27, v5
	s_branch .LBB7_107
.LBB7_110:
	;; [unrolled: 30-line block ×22, first 2 shown]
	v_mov_b32_e32 v4, 0x7fff
	v_cmp_gt_i16_e32 vcc, 0, v3
	s_movk_i32 s2, 0x8000
	s_mov_b32 s4, s72
	v_cndmask_b32_e64 v5, v4, 0, vcc
	v_xor_b32_e32 v3, v5, v3
	v_cmp_ne_u16_e32 vcc, s2, v3
	s_nop 1
	v_cndmask_b32_e32 v3, v4, v3, vcc
	v_mov_b32_e32 v4, 1
	s_branch .LBB7_192
.LBB7_191:                              ;   in Loop: Header=BB7_192 Depth=1
	s_or_b64 exec, exec, s[2:3]
	s_add_i32 s4, s4, 8
	s_add_i32 s33, s33, -8
	s_cmp_lt_u32 s4, s73
	v_add_u32_e32 v1, 0x1000, v1
	s_cbranch_scc0 .LBB7_194
.LBB7_192:                              ; =>This Inner Loop Header: Depth=1
	s_and_saveexec_b64 s[2:3], s[0:1]
	s_cbranch_execz .LBB7_191
; %bb.193:                              ;   in Loop: Header=BB7_192 Depth=1
	s_min_u32 s5, s33, 8
	v_lshrrev_b32_sdwa v5, s4, v3 dst_sel:DWORD dst_unused:UNUSED_PAD src0_sel:DWORD src1_sel:WORD_0
	v_bfe_u32 v5, v5, 0, s5
	v_lshl_add_u32 v5, v5, 4, v1
	ds_add_u32 v5, v4
	s_branch .LBB7_191
.LBB7_194:
	s_and_b64 vcc, exec, s[68:69]
	s_waitcnt lgkmcnt(0)
	s_barrier
	s_cbranch_vccz .LBB7_199
; %bb.195:
	s_movk_i32 s0, 0x100
	v_cmp_gt_u32_e32 vcc, s0, v0
	s_waitcnt vmcnt(0)
	v_lshlrev_b32_e32 v1, 4, v0
	v_mov_b32_e32 v5, 0
	v_mov_b32_e32 v4, v0
	s_mov_b32 s2, s72
	s_branch .LBB7_197
.LBB7_196:                              ;   in Loop: Header=BB7_197 Depth=1
	s_or_b64 exec, exec, s[0:1]
	s_add_i32 s2, s2, 8
	v_add_u32_e32 v4, 0x100, v4
	s_cmp_lt_u32 s2, s73
	v_add_u32_e32 v1, 0x1000, v1
	s_cbranch_scc0 .LBB7_199
.LBB7_197:                              ; =>This Inner Loop Header: Depth=1
	s_and_saveexec_b64 s[0:1], vcc
	s_cbranch_execz .LBB7_196
; %bb.198:                              ;   in Loop: Header=BB7_197 Depth=1
	ds_read2_b32 v[6:7], v1 offset1:1
	ds_read2_b32 v[8:9], v1 offset0:2 offset1:3
	v_lshl_add_u64 v[10:11], v[4:5], 3, s[66:67]
	s_waitcnt lgkmcnt(1)
	v_add_u32_e32 v3, v7, v6
	s_waitcnt lgkmcnt(0)
	v_add3_u32 v6, v3, v8, v9
	v_mov_b32_e32 v7, v5
	global_atomic_add_x2 v[10:11], v[6:7], off
	s_branch .LBB7_196
.LBB7_199:
	s_mov_b64 s[0:1], 0
.LBB7_200:
	s_and_b64 vcc, exec, s[0:1]
	s_cbranch_vccz .LBB7_276
; %bb.201:
	s_waitcnt vmcnt(0)
	v_mov_b32_e32 v3, 0
	v_lshl_add_u64 v[4:5], s[74:75], 0, v[2:3]
	v_add_co_u32_e32 v14, vcc, 0x1000, v4
	global_load_ushort v1, v2, s[74:75] offset:2048
	s_nop 0
	v_addc_co_u32_e32 v15, vcc, 0, v5, vcc
	v_add_co_u32_e32 v16, vcc, 0x2000, v4
	s_cmp_eq_u32 s72, 0
	s_nop 0
	v_addc_co_u32_e32 v17, vcc, 0, v5, vcc
	v_add_co_u32_e32 v18, vcc, 0x3000, v4
	s_cselect_b64 s[0:1], -1, 0
	s_nop 0
	v_addc_co_u32_e32 v19, vcc, 0, v5, vcc
	v_add_co_u32_e32 v20, vcc, 0x4000, v4
	s_cmp_eq_u32 s73, 16
	s_nop 0
	v_addc_co_u32_e32 v21, vcc, 0, v5, vcc
	v_add_co_u32_e32 v22, vcc, 0x5000, v4
	global_load_ushort v13, v[14:15], off
	global_load_ushort v12, v[14:15], off offset:2048
	global_load_ushort v11, v[16:17], off
	global_load_ushort v10, v[16:17], off offset:2048
	;; [unrolled: 2-line block ×4, first 2 shown]
	v_addc_co_u32_e32 v23, vcc, 0, v5, vcc
	v_add_co_u32_e32 v24, vcc, 0x6000, v4
	s_cselect_b64 s[2:3], -1, 0
	s_nop 0
	v_addc_co_u32_e32 v25, vcc, 0, v5, vcc
	v_add_co_u32_e32 v26, vcc, 0x7000, v4
	s_and_b64 s[2:3], s[0:1], s[2:3]
	s_nop 0
	v_addc_co_u32_e32 v27, vcc, 0, v5, vcc
	v_add_co_u32_e32 v28, vcc, 0x8000, v4
	s_mov_b64 s[0:1], -1
	s_nop 0
	v_addc_co_u32_e32 v29, vcc, 0, v5, vcc
	v_add_co_u32_e32 v30, vcc, 0x9000, v4
	global_load_ushort v21, v[22:23], off
	global_load_ushort v20, v[22:23], off offset:2048
	global_load_ushort v19, v[24:25], off
	global_load_ushort v18, v[24:25], off offset:2048
	;; [unrolled: 2-line block ×4, first 2 shown]
	v_addc_co_u32_e32 v31, vcc, 0, v5, vcc
	v_add_co_u32_e32 v32, vcc, 0xa000, v4
	s_nop 1
	v_addc_co_u32_e32 v33, vcc, 0, v5, vcc
	v_add_co_u32_e32 v34, vcc, 0xb000, v4
	s_nop 1
	;; [unrolled: 3-line block ×3, first 2 shown]
	v_addc_co_u32_e32 v37, vcc, 0, v5, vcc
	global_load_ushort v29, v[30:31], off
	global_load_ushort v28, v[30:31], off offset:2048
	global_load_ushort v27, v[32:33], off
	global_load_ushort v26, v[32:33], off offset:2048
	global_load_ushort v25, v[34:35], off
	global_load_ushort v23, v[34:35], off offset:2048
	global_load_ushort v24, v[36:37], off
	global_load_ushort v22, v[36:37], off offset:2048
	v_add_co_u32_e32 v36, vcc, 0xd000, v4
	s_nop 1
	v_addc_co_u32_e32 v37, vcc, 0, v5, vcc
	v_add_co_u32_e32 v38, vcc, 0xe000, v4
	s_nop 1
	v_addc_co_u32_e32 v39, vcc, 0, v5, vcc
	;; [unrolled: 3-line block ×3, first 2 shown]
	global_load_ushort v33, v[36:37], off
	global_load_ushort v32, v[36:37], off offset:2048
	global_load_ushort v31, v[38:39], off
	global_load_ushort v5, v[38:39], off offset:2048
	global_load_ushort v30, v[40:41], off
	global_load_ushort v34, v2, s[74:75]
	global_load_ushort v4, v[40:41], off offset:2048
	v_lshlrev_b32_e32 v2, 2, v0
	s_and_b64 vcc, exec, s[2:3]
	ds_write2st64_b32 v2, v3, v3 offset1:16
	s_waitcnt lgkmcnt(0)
	s_cbranch_vccnz .LBB7_273
; %bb.202:
	s_cmp_gt_u32 s73, s72
	s_cselect_b64 s[0:1], -1, 0
	s_and_b64 vcc, exec, s[0:1]
	s_barrier
	s_cbranch_vccz .LBB7_267
; %bb.203:
	v_mov_b32_e32 v3, 0x7fff
	s_waitcnt vmcnt(1)
	v_cmp_gt_i16_e32 vcc, 0, v34
	v_and_b32_e32 v2, 3, v0
	s_movk_i32 s2, 0x8000
	v_cndmask_b32_e64 v35, v3, 0, vcc
	v_xor_b32_e32 v35, v35, v34
	v_cmp_ne_u16_e32 vcc, s2, v35
	v_lshlrev_b32_e32 v2, 2, v2
	s_sub_i32 s2, s73, s72
	v_cndmask_b32_e32 v3, v3, v35, vcc
	v_mov_b32_e32 v35, 1
	s_mov_b32 s3, s2
	v_mov_b32_e32 v36, v2
	s_mov_b32 s4, s72
.LBB7_204:                              ; =>This Inner Loop Header: Depth=1
	s_min_u32 s5, s3, 8
	v_lshrrev_b32_sdwa v37, s4, v3 dst_sel:DWORD dst_unused:UNUSED_PAD src0_sel:DWORD src1_sel:WORD_0
	v_bfe_u32 v37, v37, 0, s5
	v_lshl_add_u32 v37, v37, 4, v36
	ds_add_u32 v37, v35
	s_add_i32 s4, s4, 8
	s_add_i32 s3, s3, -8
	s_cmp_ge_u32 s4, s73
	v_add_u32_e32 v36, 0x1000, v36
	s_cbranch_scc0 .LBB7_204
; %bb.205:
	v_mov_b32_e32 v3, 0x7fff
	v_cmp_gt_i16_e32 vcc, 0, v1
	s_movk_i32 s3, 0x8000
	v_mov_b32_e32 v36, v2
	v_cndmask_b32_e64 v35, v3, 0, vcc
	v_xor_b32_e32 v35, v35, v1
	v_cmp_ne_u16_e32 vcc, s3, v35
	s_mov_b32 s3, s2
	s_mov_b32 s4, s72
	v_cndmask_b32_e32 v3, v3, v35, vcc
	v_mov_b32_e32 v35, 1
.LBB7_206:                              ; =>This Inner Loop Header: Depth=1
	s_min_u32 s5, s3, 8
	v_lshrrev_b32_sdwa v37, s4, v3 dst_sel:DWORD dst_unused:UNUSED_PAD src0_sel:DWORD src1_sel:WORD_0
	v_bfe_u32 v37, v37, 0, s5
	v_lshl_add_u32 v37, v37, 4, v36
	ds_add_u32 v37, v35
	s_add_i32 s4, s4, 8
	s_add_i32 s3, s3, -8
	s_cmp_lt_u32 s4, s73
	v_add_u32_e32 v36, 0x1000, v36
	s_cbranch_scc1 .LBB7_206
; %bb.207:
	v_mov_b32_e32 v3, 0x7fff
	v_cmp_gt_i16_e32 vcc, 0, v13
	s_movk_i32 s3, 0x8000
	v_mov_b32_e32 v36, v2
	v_cndmask_b32_e64 v35, v3, 0, vcc
	v_xor_b32_e32 v35, v35, v13
	v_cmp_ne_u16_e32 vcc, s3, v35
	s_mov_b32 s3, s2
	s_mov_b32 s4, s72
	v_cndmask_b32_e32 v3, v3, v35, vcc
	v_mov_b32_e32 v35, 1
.LBB7_208:                              ; =>This Inner Loop Header: Depth=1
	s_min_u32 s5, s3, 8
	v_lshrrev_b32_sdwa v37, s4, v3 dst_sel:DWORD dst_unused:UNUSED_PAD src0_sel:DWORD src1_sel:WORD_0
	v_bfe_u32 v37, v37, 0, s5
	v_lshl_add_u32 v37, v37, 4, v36
	ds_add_u32 v37, v35
	s_add_i32 s4, s4, 8
	s_add_i32 s3, s3, -8
	s_cmp_lt_u32 s4, s73
	v_add_u32_e32 v36, 0x1000, v36
	s_cbranch_scc1 .LBB7_208
; %bb.209:
	v_mov_b32_e32 v3, 0x7fff
	v_cmp_gt_i16_e32 vcc, 0, v12
	s_movk_i32 s3, 0x8000
	v_mov_b32_e32 v36, v2
	v_cndmask_b32_e64 v35, v3, 0, vcc
	v_xor_b32_e32 v35, v35, v12
	v_cmp_ne_u16_e32 vcc, s3, v35
	s_mov_b32 s3, s2
	s_mov_b32 s4, s72
	v_cndmask_b32_e32 v3, v3, v35, vcc
	v_mov_b32_e32 v35, 1
.LBB7_210:                              ; =>This Inner Loop Header: Depth=1
	s_min_u32 s5, s3, 8
	v_lshrrev_b32_sdwa v37, s4, v3 dst_sel:DWORD dst_unused:UNUSED_PAD src0_sel:DWORD src1_sel:WORD_0
	v_bfe_u32 v37, v37, 0, s5
	v_lshl_add_u32 v37, v37, 4, v36
	ds_add_u32 v37, v35
	s_add_i32 s4, s4, 8
	s_add_i32 s3, s3, -8
	s_cmp_lt_u32 s4, s73
	v_add_u32_e32 v36, 0x1000, v36
	s_cbranch_scc1 .LBB7_210
; %bb.211:
	v_mov_b32_e32 v3, 0x7fff
	v_cmp_gt_i16_e32 vcc, 0, v11
	s_movk_i32 s3, 0x8000
	v_mov_b32_e32 v36, v2
	v_cndmask_b32_e64 v35, v3, 0, vcc
	v_xor_b32_e32 v35, v35, v11
	v_cmp_ne_u16_e32 vcc, s3, v35
	s_mov_b32 s3, s2
	s_mov_b32 s4, s72
	v_cndmask_b32_e32 v3, v3, v35, vcc
	v_mov_b32_e32 v35, 1
.LBB7_212:                              ; =>This Inner Loop Header: Depth=1
	s_min_u32 s5, s3, 8
	v_lshrrev_b32_sdwa v37, s4, v3 dst_sel:DWORD dst_unused:UNUSED_PAD src0_sel:DWORD src1_sel:WORD_0
	v_bfe_u32 v37, v37, 0, s5
	v_lshl_add_u32 v37, v37, 4, v36
	ds_add_u32 v37, v35
	s_add_i32 s4, s4, 8
	s_add_i32 s3, s3, -8
	s_cmp_lt_u32 s4, s73
	v_add_u32_e32 v36, 0x1000, v36
	s_cbranch_scc1 .LBB7_212
; %bb.213:
	v_mov_b32_e32 v3, 0x7fff
	v_cmp_gt_i16_e32 vcc, 0, v10
	s_movk_i32 s3, 0x8000
	v_mov_b32_e32 v36, v2
	v_cndmask_b32_e64 v35, v3, 0, vcc
	v_xor_b32_e32 v35, v35, v10
	v_cmp_ne_u16_e32 vcc, s3, v35
	s_mov_b32 s3, s2
	s_mov_b32 s4, s72
	v_cndmask_b32_e32 v3, v3, v35, vcc
	v_mov_b32_e32 v35, 1
.LBB7_214:                              ; =>This Inner Loop Header: Depth=1
	s_min_u32 s5, s3, 8
	v_lshrrev_b32_sdwa v37, s4, v3 dst_sel:DWORD dst_unused:UNUSED_PAD src0_sel:DWORD src1_sel:WORD_0
	v_bfe_u32 v37, v37, 0, s5
	v_lshl_add_u32 v37, v37, 4, v36
	ds_add_u32 v37, v35
	s_add_i32 s4, s4, 8
	s_add_i32 s3, s3, -8
	s_cmp_lt_u32 s4, s73
	v_add_u32_e32 v36, 0x1000, v36
	s_cbranch_scc1 .LBB7_214
; %bb.215:
	v_mov_b32_e32 v3, 0x7fff
	v_cmp_gt_i16_e32 vcc, 0, v9
	s_movk_i32 s3, 0x8000
	v_mov_b32_e32 v36, v2
	v_cndmask_b32_e64 v35, v3, 0, vcc
	v_xor_b32_e32 v35, v35, v9
	v_cmp_ne_u16_e32 vcc, s3, v35
	s_mov_b32 s3, s2
	s_mov_b32 s4, s72
	v_cndmask_b32_e32 v3, v3, v35, vcc
	v_mov_b32_e32 v35, 1
.LBB7_216:                              ; =>This Inner Loop Header: Depth=1
	s_min_u32 s5, s3, 8
	v_lshrrev_b32_sdwa v37, s4, v3 dst_sel:DWORD dst_unused:UNUSED_PAD src0_sel:DWORD src1_sel:WORD_0
	v_bfe_u32 v37, v37, 0, s5
	v_lshl_add_u32 v37, v37, 4, v36
	ds_add_u32 v37, v35
	s_add_i32 s4, s4, 8
	s_add_i32 s3, s3, -8
	s_cmp_lt_u32 s4, s73
	v_add_u32_e32 v36, 0x1000, v36
	s_cbranch_scc1 .LBB7_216
; %bb.217:
	v_mov_b32_e32 v3, 0x7fff
	v_cmp_gt_i16_e32 vcc, 0, v7
	s_movk_i32 s3, 0x8000
	v_mov_b32_e32 v36, v2
	v_cndmask_b32_e64 v35, v3, 0, vcc
	v_xor_b32_e32 v35, v35, v7
	v_cmp_ne_u16_e32 vcc, s3, v35
	s_mov_b32 s3, s2
	s_mov_b32 s4, s72
	v_cndmask_b32_e32 v3, v3, v35, vcc
	v_mov_b32_e32 v35, 1
.LBB7_218:                              ; =>This Inner Loop Header: Depth=1
	s_min_u32 s5, s3, 8
	v_lshrrev_b32_sdwa v37, s4, v3 dst_sel:DWORD dst_unused:UNUSED_PAD src0_sel:DWORD src1_sel:WORD_0
	v_bfe_u32 v37, v37, 0, s5
	v_lshl_add_u32 v37, v37, 4, v36
	ds_add_u32 v37, v35
	s_add_i32 s4, s4, 8
	s_add_i32 s3, s3, -8
	s_cmp_lt_u32 s4, s73
	v_add_u32_e32 v36, 0x1000, v36
	s_cbranch_scc1 .LBB7_218
; %bb.219:
	v_mov_b32_e32 v3, 0x7fff
	v_cmp_gt_i16_e32 vcc, 0, v8
	s_movk_i32 s3, 0x8000
	v_mov_b32_e32 v36, v2
	v_cndmask_b32_e64 v35, v3, 0, vcc
	v_xor_b32_e32 v35, v35, v8
	v_cmp_ne_u16_e32 vcc, s3, v35
	s_mov_b32 s3, s2
	s_mov_b32 s4, s72
	v_cndmask_b32_e32 v3, v3, v35, vcc
	v_mov_b32_e32 v35, 1
.LBB7_220:                              ; =>This Inner Loop Header: Depth=1
	s_min_u32 s5, s3, 8
	v_lshrrev_b32_sdwa v37, s4, v3 dst_sel:DWORD dst_unused:UNUSED_PAD src0_sel:DWORD src1_sel:WORD_0
	v_bfe_u32 v37, v37, 0, s5
	v_lshl_add_u32 v37, v37, 4, v36
	ds_add_u32 v37, v35
	s_add_i32 s4, s4, 8
	s_add_i32 s3, s3, -8
	s_cmp_lt_u32 s4, s73
	v_add_u32_e32 v36, 0x1000, v36
	s_cbranch_scc1 .LBB7_220
; %bb.221:
	v_mov_b32_e32 v3, 0x7fff
	v_cmp_gt_i16_e32 vcc, 0, v6
	s_movk_i32 s3, 0x8000
	v_mov_b32_e32 v36, v2
	v_cndmask_b32_e64 v35, v3, 0, vcc
	v_xor_b32_e32 v35, v35, v6
	v_cmp_ne_u16_e32 vcc, s3, v35
	s_mov_b32 s3, s2
	s_mov_b32 s4, s72
	v_cndmask_b32_e32 v3, v3, v35, vcc
	v_mov_b32_e32 v35, 1
.LBB7_222:                              ; =>This Inner Loop Header: Depth=1
	s_min_u32 s5, s3, 8
	v_lshrrev_b32_sdwa v37, s4, v3 dst_sel:DWORD dst_unused:UNUSED_PAD src0_sel:DWORD src1_sel:WORD_0
	v_bfe_u32 v37, v37, 0, s5
	v_lshl_add_u32 v37, v37, 4, v36
	ds_add_u32 v37, v35
	s_add_i32 s4, s4, 8
	s_add_i32 s3, s3, -8
	s_cmp_lt_u32 s4, s73
	v_add_u32_e32 v36, 0x1000, v36
	s_cbranch_scc1 .LBB7_222
; %bb.223:
	v_mov_b32_e32 v3, 0x7fff
	v_cmp_gt_i16_e32 vcc, 0, v21
	s_movk_i32 s3, 0x8000
	v_mov_b32_e32 v36, v2
	v_cndmask_b32_e64 v35, v3, 0, vcc
	v_xor_b32_e32 v35, v35, v21
	v_cmp_ne_u16_e32 vcc, s3, v35
	s_mov_b32 s3, s2
	s_mov_b32 s4, s72
	v_cndmask_b32_e32 v3, v3, v35, vcc
	v_mov_b32_e32 v35, 1
.LBB7_224:                              ; =>This Inner Loop Header: Depth=1
	s_min_u32 s5, s3, 8
	v_lshrrev_b32_sdwa v37, s4, v3 dst_sel:DWORD dst_unused:UNUSED_PAD src0_sel:DWORD src1_sel:WORD_0
	v_bfe_u32 v37, v37, 0, s5
	v_lshl_add_u32 v37, v37, 4, v36
	ds_add_u32 v37, v35
	s_add_i32 s4, s4, 8
	s_add_i32 s3, s3, -8
	s_cmp_lt_u32 s4, s73
	v_add_u32_e32 v36, 0x1000, v36
	s_cbranch_scc1 .LBB7_224
; %bb.225:
	v_mov_b32_e32 v3, 0x7fff
	v_cmp_gt_i16_e32 vcc, 0, v20
	s_movk_i32 s3, 0x8000
	v_mov_b32_e32 v36, v2
	v_cndmask_b32_e64 v35, v3, 0, vcc
	v_xor_b32_e32 v35, v35, v20
	v_cmp_ne_u16_e32 vcc, s3, v35
	s_mov_b32 s3, s2
	s_mov_b32 s4, s72
	v_cndmask_b32_e32 v3, v3, v35, vcc
	v_mov_b32_e32 v35, 1
.LBB7_226:                              ; =>This Inner Loop Header: Depth=1
	s_min_u32 s5, s3, 8
	v_lshrrev_b32_sdwa v37, s4, v3 dst_sel:DWORD dst_unused:UNUSED_PAD src0_sel:DWORD src1_sel:WORD_0
	v_bfe_u32 v37, v37, 0, s5
	v_lshl_add_u32 v37, v37, 4, v36
	ds_add_u32 v37, v35
	s_add_i32 s4, s4, 8
	s_add_i32 s3, s3, -8
	s_cmp_lt_u32 s4, s73
	v_add_u32_e32 v36, 0x1000, v36
	s_cbranch_scc1 .LBB7_226
; %bb.227:
	v_mov_b32_e32 v3, 0x7fff
	v_cmp_gt_i16_e32 vcc, 0, v19
	s_movk_i32 s3, 0x8000
	v_mov_b32_e32 v36, v2
	v_cndmask_b32_e64 v35, v3, 0, vcc
	v_xor_b32_e32 v35, v35, v19
	v_cmp_ne_u16_e32 vcc, s3, v35
	s_mov_b32 s3, s2
	s_mov_b32 s4, s72
	v_cndmask_b32_e32 v3, v3, v35, vcc
	v_mov_b32_e32 v35, 1
.LBB7_228:                              ; =>This Inner Loop Header: Depth=1
	s_min_u32 s5, s3, 8
	v_lshrrev_b32_sdwa v37, s4, v3 dst_sel:DWORD dst_unused:UNUSED_PAD src0_sel:DWORD src1_sel:WORD_0
	v_bfe_u32 v37, v37, 0, s5
	v_lshl_add_u32 v37, v37, 4, v36
	ds_add_u32 v37, v35
	s_add_i32 s4, s4, 8
	s_add_i32 s3, s3, -8
	s_cmp_lt_u32 s4, s73
	v_add_u32_e32 v36, 0x1000, v36
	s_cbranch_scc1 .LBB7_228
; %bb.229:
	v_mov_b32_e32 v3, 0x7fff
	v_cmp_gt_i16_e32 vcc, 0, v18
	s_movk_i32 s3, 0x8000
	v_mov_b32_e32 v36, v2
	v_cndmask_b32_e64 v35, v3, 0, vcc
	v_xor_b32_e32 v35, v35, v18
	v_cmp_ne_u16_e32 vcc, s3, v35
	s_mov_b32 s3, s2
	s_mov_b32 s4, s72
	v_cndmask_b32_e32 v3, v3, v35, vcc
	v_mov_b32_e32 v35, 1
.LBB7_230:                              ; =>This Inner Loop Header: Depth=1
	s_min_u32 s5, s3, 8
	v_lshrrev_b32_sdwa v37, s4, v3 dst_sel:DWORD dst_unused:UNUSED_PAD src0_sel:DWORD src1_sel:WORD_0
	v_bfe_u32 v37, v37, 0, s5
	v_lshl_add_u32 v37, v37, 4, v36
	ds_add_u32 v37, v35
	s_add_i32 s4, s4, 8
	s_add_i32 s3, s3, -8
	s_cmp_lt_u32 s4, s73
	v_add_u32_e32 v36, 0x1000, v36
	s_cbranch_scc1 .LBB7_230
; %bb.231:
	v_mov_b32_e32 v3, 0x7fff
	v_cmp_gt_i16_e32 vcc, 0, v17
	s_movk_i32 s3, 0x8000
	v_mov_b32_e32 v36, v2
	v_cndmask_b32_e64 v35, v3, 0, vcc
	v_xor_b32_e32 v35, v35, v17
	v_cmp_ne_u16_e32 vcc, s3, v35
	s_mov_b32 s3, s2
	s_mov_b32 s4, s72
	v_cndmask_b32_e32 v3, v3, v35, vcc
	v_mov_b32_e32 v35, 1
.LBB7_232:                              ; =>This Inner Loop Header: Depth=1
	s_min_u32 s5, s3, 8
	v_lshrrev_b32_sdwa v37, s4, v3 dst_sel:DWORD dst_unused:UNUSED_PAD src0_sel:DWORD src1_sel:WORD_0
	v_bfe_u32 v37, v37, 0, s5
	v_lshl_add_u32 v37, v37, 4, v36
	ds_add_u32 v37, v35
	s_add_i32 s4, s4, 8
	s_add_i32 s3, s3, -8
	s_cmp_lt_u32 s4, s73
	v_add_u32_e32 v36, 0x1000, v36
	s_cbranch_scc1 .LBB7_232
; %bb.233:
	v_mov_b32_e32 v3, 0x7fff
	v_cmp_gt_i16_e32 vcc, 0, v15
	s_movk_i32 s3, 0x8000
	v_mov_b32_e32 v36, v2
	v_cndmask_b32_e64 v35, v3, 0, vcc
	v_xor_b32_e32 v35, v35, v15
	v_cmp_ne_u16_e32 vcc, s3, v35
	s_mov_b32 s3, s2
	s_mov_b32 s4, s72
	v_cndmask_b32_e32 v3, v3, v35, vcc
	v_mov_b32_e32 v35, 1
.LBB7_234:                              ; =>This Inner Loop Header: Depth=1
	s_min_u32 s5, s3, 8
	v_lshrrev_b32_sdwa v37, s4, v3 dst_sel:DWORD dst_unused:UNUSED_PAD src0_sel:DWORD src1_sel:WORD_0
	v_bfe_u32 v37, v37, 0, s5
	v_lshl_add_u32 v37, v37, 4, v36
	ds_add_u32 v37, v35
	s_add_i32 s4, s4, 8
	s_add_i32 s3, s3, -8
	s_cmp_lt_u32 s4, s73
	v_add_u32_e32 v36, 0x1000, v36
	s_cbranch_scc1 .LBB7_234
; %bb.235:
	v_mov_b32_e32 v3, 0x7fff
	v_cmp_gt_i16_e32 vcc, 0, v16
	s_movk_i32 s3, 0x8000
	v_mov_b32_e32 v36, v2
	v_cndmask_b32_e64 v35, v3, 0, vcc
	v_xor_b32_e32 v35, v35, v16
	v_cmp_ne_u16_e32 vcc, s3, v35
	s_mov_b32 s3, s2
	s_mov_b32 s4, s72
	v_cndmask_b32_e32 v3, v3, v35, vcc
	v_mov_b32_e32 v35, 1
.LBB7_236:                              ; =>This Inner Loop Header: Depth=1
	s_min_u32 s5, s3, 8
	v_lshrrev_b32_sdwa v37, s4, v3 dst_sel:DWORD dst_unused:UNUSED_PAD src0_sel:DWORD src1_sel:WORD_0
	v_bfe_u32 v37, v37, 0, s5
	v_lshl_add_u32 v37, v37, 4, v36
	ds_add_u32 v37, v35
	s_add_i32 s4, s4, 8
	s_add_i32 s3, s3, -8
	s_cmp_lt_u32 s4, s73
	v_add_u32_e32 v36, 0x1000, v36
	s_cbranch_scc1 .LBB7_236
; %bb.237:
	v_mov_b32_e32 v3, 0x7fff
	v_cmp_gt_i16_e32 vcc, 0, v14
	s_movk_i32 s3, 0x8000
	v_mov_b32_e32 v36, v2
	v_cndmask_b32_e64 v35, v3, 0, vcc
	v_xor_b32_e32 v35, v35, v14
	v_cmp_ne_u16_e32 vcc, s3, v35
	s_mov_b32 s3, s2
	s_mov_b32 s4, s72
	v_cndmask_b32_e32 v3, v3, v35, vcc
	v_mov_b32_e32 v35, 1
.LBB7_238:                              ; =>This Inner Loop Header: Depth=1
	s_min_u32 s5, s3, 8
	v_lshrrev_b32_sdwa v37, s4, v3 dst_sel:DWORD dst_unused:UNUSED_PAD src0_sel:DWORD src1_sel:WORD_0
	v_bfe_u32 v37, v37, 0, s5
	v_lshl_add_u32 v37, v37, 4, v36
	ds_add_u32 v37, v35
	s_add_i32 s4, s4, 8
	s_add_i32 s3, s3, -8
	s_cmp_lt_u32 s4, s73
	v_add_u32_e32 v36, 0x1000, v36
	s_cbranch_scc1 .LBB7_238
; %bb.239:
	v_mov_b32_e32 v3, 0x7fff
	v_cmp_gt_i16_e32 vcc, 0, v29
	s_movk_i32 s3, 0x8000
	v_mov_b32_e32 v36, v2
	v_cndmask_b32_e64 v35, v3, 0, vcc
	v_xor_b32_e32 v35, v35, v29
	v_cmp_ne_u16_e32 vcc, s3, v35
	s_mov_b32 s3, s2
	s_mov_b32 s4, s72
	v_cndmask_b32_e32 v3, v3, v35, vcc
	v_mov_b32_e32 v35, 1
.LBB7_240:                              ; =>This Inner Loop Header: Depth=1
	s_min_u32 s5, s3, 8
	v_lshrrev_b32_sdwa v37, s4, v3 dst_sel:DWORD dst_unused:UNUSED_PAD src0_sel:DWORD src1_sel:WORD_0
	v_bfe_u32 v37, v37, 0, s5
	v_lshl_add_u32 v37, v37, 4, v36
	ds_add_u32 v37, v35
	s_add_i32 s4, s4, 8
	s_add_i32 s3, s3, -8
	s_cmp_lt_u32 s4, s73
	v_add_u32_e32 v36, 0x1000, v36
	s_cbranch_scc1 .LBB7_240
; %bb.241:
	v_mov_b32_e32 v3, 0x7fff
	v_cmp_gt_i16_e32 vcc, 0, v28
	s_movk_i32 s3, 0x8000
	v_mov_b32_e32 v36, v2
	v_cndmask_b32_e64 v35, v3, 0, vcc
	v_xor_b32_e32 v35, v35, v28
	v_cmp_ne_u16_e32 vcc, s3, v35
	s_mov_b32 s3, s2
	s_mov_b32 s4, s72
	v_cndmask_b32_e32 v3, v3, v35, vcc
	v_mov_b32_e32 v35, 1
.LBB7_242:                              ; =>This Inner Loop Header: Depth=1
	s_min_u32 s5, s3, 8
	v_lshrrev_b32_sdwa v37, s4, v3 dst_sel:DWORD dst_unused:UNUSED_PAD src0_sel:DWORD src1_sel:WORD_0
	v_bfe_u32 v37, v37, 0, s5
	v_lshl_add_u32 v37, v37, 4, v36
	ds_add_u32 v37, v35
	s_add_i32 s4, s4, 8
	s_add_i32 s3, s3, -8
	s_cmp_lt_u32 s4, s73
	v_add_u32_e32 v36, 0x1000, v36
	s_cbranch_scc1 .LBB7_242
; %bb.243:
	v_mov_b32_e32 v3, 0x7fff
	v_cmp_gt_i16_e32 vcc, 0, v27
	s_movk_i32 s3, 0x8000
	v_mov_b32_e32 v36, v2
	v_cndmask_b32_e64 v35, v3, 0, vcc
	v_xor_b32_e32 v35, v35, v27
	v_cmp_ne_u16_e32 vcc, s3, v35
	s_mov_b32 s3, s2
	s_mov_b32 s4, s72
	v_cndmask_b32_e32 v3, v3, v35, vcc
	v_mov_b32_e32 v35, 1
.LBB7_244:                              ; =>This Inner Loop Header: Depth=1
	s_min_u32 s5, s3, 8
	v_lshrrev_b32_sdwa v37, s4, v3 dst_sel:DWORD dst_unused:UNUSED_PAD src0_sel:DWORD src1_sel:WORD_0
	v_bfe_u32 v37, v37, 0, s5
	v_lshl_add_u32 v37, v37, 4, v36
	ds_add_u32 v37, v35
	s_add_i32 s4, s4, 8
	s_add_i32 s3, s3, -8
	s_cmp_lt_u32 s4, s73
	v_add_u32_e32 v36, 0x1000, v36
	s_cbranch_scc1 .LBB7_244
; %bb.245:
	v_mov_b32_e32 v3, 0x7fff
	v_cmp_gt_i16_e32 vcc, 0, v26
	s_movk_i32 s3, 0x8000
	v_mov_b32_e32 v36, v2
	v_cndmask_b32_e64 v35, v3, 0, vcc
	v_xor_b32_e32 v35, v35, v26
	v_cmp_ne_u16_e32 vcc, s3, v35
	s_mov_b32 s3, s2
	s_mov_b32 s4, s72
	v_cndmask_b32_e32 v3, v3, v35, vcc
	v_mov_b32_e32 v35, 1
.LBB7_246:                              ; =>This Inner Loop Header: Depth=1
	s_min_u32 s5, s3, 8
	v_lshrrev_b32_sdwa v37, s4, v3 dst_sel:DWORD dst_unused:UNUSED_PAD src0_sel:DWORD src1_sel:WORD_0
	v_bfe_u32 v37, v37, 0, s5
	v_lshl_add_u32 v37, v37, 4, v36
	ds_add_u32 v37, v35
	s_add_i32 s4, s4, 8
	s_add_i32 s3, s3, -8
	s_cmp_lt_u32 s4, s73
	v_add_u32_e32 v36, 0x1000, v36
	s_cbranch_scc1 .LBB7_246
; %bb.247:
	v_mov_b32_e32 v3, 0x7fff
	v_cmp_gt_i16_e32 vcc, 0, v25
	s_movk_i32 s3, 0x8000
	v_mov_b32_e32 v36, v2
	v_cndmask_b32_e64 v35, v3, 0, vcc
	v_xor_b32_e32 v35, v35, v25
	v_cmp_ne_u16_e32 vcc, s3, v35
	s_mov_b32 s3, s2
	s_mov_b32 s4, s72
	v_cndmask_b32_e32 v3, v3, v35, vcc
	v_mov_b32_e32 v35, 1
.LBB7_248:                              ; =>This Inner Loop Header: Depth=1
	s_min_u32 s5, s3, 8
	v_lshrrev_b32_sdwa v37, s4, v3 dst_sel:DWORD dst_unused:UNUSED_PAD src0_sel:DWORD src1_sel:WORD_0
	v_bfe_u32 v37, v37, 0, s5
	v_lshl_add_u32 v37, v37, 4, v36
	ds_add_u32 v37, v35
	s_add_i32 s4, s4, 8
	s_add_i32 s3, s3, -8
	s_cmp_lt_u32 s4, s73
	v_add_u32_e32 v36, 0x1000, v36
	s_cbranch_scc1 .LBB7_248
; %bb.249:
	v_mov_b32_e32 v3, 0x7fff
	v_cmp_gt_i16_e32 vcc, 0, v23
	s_movk_i32 s3, 0x8000
	v_mov_b32_e32 v36, v2
	v_cndmask_b32_e64 v35, v3, 0, vcc
	v_xor_b32_e32 v35, v35, v23
	v_cmp_ne_u16_e32 vcc, s3, v35
	s_mov_b32 s3, s2
	s_mov_b32 s4, s72
	v_cndmask_b32_e32 v3, v3, v35, vcc
	v_mov_b32_e32 v35, 1
.LBB7_250:                              ; =>This Inner Loop Header: Depth=1
	s_min_u32 s5, s3, 8
	v_lshrrev_b32_sdwa v37, s4, v3 dst_sel:DWORD dst_unused:UNUSED_PAD src0_sel:DWORD src1_sel:WORD_0
	v_bfe_u32 v37, v37, 0, s5
	v_lshl_add_u32 v37, v37, 4, v36
	ds_add_u32 v37, v35
	s_add_i32 s4, s4, 8
	s_add_i32 s3, s3, -8
	s_cmp_lt_u32 s4, s73
	v_add_u32_e32 v36, 0x1000, v36
	s_cbranch_scc1 .LBB7_250
; %bb.251:
	v_mov_b32_e32 v3, 0x7fff
	v_cmp_gt_i16_e32 vcc, 0, v24
	s_movk_i32 s3, 0x8000
	v_mov_b32_e32 v36, v2
	v_cndmask_b32_e64 v35, v3, 0, vcc
	v_xor_b32_e32 v35, v35, v24
	v_cmp_ne_u16_e32 vcc, s3, v35
	s_mov_b32 s3, s2
	s_mov_b32 s4, s72
	v_cndmask_b32_e32 v3, v3, v35, vcc
	v_mov_b32_e32 v35, 1
.LBB7_252:                              ; =>This Inner Loop Header: Depth=1
	s_min_u32 s5, s3, 8
	v_lshrrev_b32_sdwa v37, s4, v3 dst_sel:DWORD dst_unused:UNUSED_PAD src0_sel:DWORD src1_sel:WORD_0
	v_bfe_u32 v37, v37, 0, s5
	v_lshl_add_u32 v37, v37, 4, v36
	ds_add_u32 v37, v35
	s_add_i32 s4, s4, 8
	s_add_i32 s3, s3, -8
	s_cmp_lt_u32 s4, s73
	v_add_u32_e32 v36, 0x1000, v36
	s_cbranch_scc1 .LBB7_252
; %bb.253:
	v_mov_b32_e32 v3, 0x7fff
	v_cmp_gt_i16_e32 vcc, 0, v22
	s_movk_i32 s3, 0x8000
	v_mov_b32_e32 v36, v2
	v_cndmask_b32_e64 v35, v3, 0, vcc
	v_xor_b32_e32 v35, v35, v22
	v_cmp_ne_u16_e32 vcc, s3, v35
	s_mov_b32 s3, s2
	s_mov_b32 s4, s72
	v_cndmask_b32_e32 v3, v3, v35, vcc
	v_mov_b32_e32 v35, 1
.LBB7_254:                              ; =>This Inner Loop Header: Depth=1
	s_min_u32 s5, s3, 8
	v_lshrrev_b32_sdwa v37, s4, v3 dst_sel:DWORD dst_unused:UNUSED_PAD src0_sel:DWORD src1_sel:WORD_0
	v_bfe_u32 v37, v37, 0, s5
	v_lshl_add_u32 v37, v37, 4, v36
	ds_add_u32 v37, v35
	s_add_i32 s4, s4, 8
	s_add_i32 s3, s3, -8
	s_cmp_lt_u32 s4, s73
	v_add_u32_e32 v36, 0x1000, v36
	s_cbranch_scc1 .LBB7_254
; %bb.255:
	v_mov_b32_e32 v3, 0x7fff
	v_cmp_gt_i16_e32 vcc, 0, v33
	s_movk_i32 s3, 0x8000
	v_mov_b32_e32 v36, v2
	v_cndmask_b32_e64 v35, v3, 0, vcc
	v_xor_b32_e32 v35, v35, v33
	v_cmp_ne_u16_e32 vcc, s3, v35
	s_mov_b32 s3, s2
	s_mov_b32 s4, s72
	v_cndmask_b32_e32 v3, v3, v35, vcc
	v_mov_b32_e32 v35, 1
.LBB7_256:                              ; =>This Inner Loop Header: Depth=1
	s_min_u32 s5, s3, 8
	v_lshrrev_b32_sdwa v37, s4, v3 dst_sel:DWORD dst_unused:UNUSED_PAD src0_sel:DWORD src1_sel:WORD_0
	v_bfe_u32 v37, v37, 0, s5
	v_lshl_add_u32 v37, v37, 4, v36
	ds_add_u32 v37, v35
	s_add_i32 s4, s4, 8
	s_add_i32 s3, s3, -8
	s_cmp_lt_u32 s4, s73
	v_add_u32_e32 v36, 0x1000, v36
	s_cbranch_scc1 .LBB7_256
; %bb.257:
	v_mov_b32_e32 v3, 0x7fff
	v_cmp_gt_i16_e32 vcc, 0, v32
	s_movk_i32 s3, 0x8000
	v_mov_b32_e32 v36, v2
	v_cndmask_b32_e64 v35, v3, 0, vcc
	v_xor_b32_e32 v35, v35, v32
	v_cmp_ne_u16_e32 vcc, s3, v35
	s_mov_b32 s3, s2
	s_mov_b32 s4, s72
	v_cndmask_b32_e32 v3, v3, v35, vcc
	v_mov_b32_e32 v35, 1
.LBB7_258:                              ; =>This Inner Loop Header: Depth=1
	s_min_u32 s5, s3, 8
	v_lshrrev_b32_sdwa v37, s4, v3 dst_sel:DWORD dst_unused:UNUSED_PAD src0_sel:DWORD src1_sel:WORD_0
	v_bfe_u32 v37, v37, 0, s5
	v_lshl_add_u32 v37, v37, 4, v36
	ds_add_u32 v37, v35
	s_add_i32 s4, s4, 8
	s_add_i32 s3, s3, -8
	s_cmp_lt_u32 s4, s73
	v_add_u32_e32 v36, 0x1000, v36
	s_cbranch_scc1 .LBB7_258
; %bb.259:
	v_mov_b32_e32 v3, 0x7fff
	v_cmp_gt_i16_e32 vcc, 0, v31
	s_movk_i32 s3, 0x8000
	v_mov_b32_e32 v36, v2
	v_cndmask_b32_e64 v35, v3, 0, vcc
	v_xor_b32_e32 v35, v35, v31
	v_cmp_ne_u16_e32 vcc, s3, v35
	s_mov_b32 s3, s2
	s_mov_b32 s4, s72
	v_cndmask_b32_e32 v3, v3, v35, vcc
	v_mov_b32_e32 v35, 1
.LBB7_260:                              ; =>This Inner Loop Header: Depth=1
	s_min_u32 s5, s3, 8
	v_lshrrev_b32_sdwa v37, s4, v3 dst_sel:DWORD dst_unused:UNUSED_PAD src0_sel:DWORD src1_sel:WORD_0
	v_bfe_u32 v37, v37, 0, s5
	v_lshl_add_u32 v37, v37, 4, v36
	ds_add_u32 v37, v35
	s_add_i32 s4, s4, 8
	s_add_i32 s3, s3, -8
	s_cmp_lt_u32 s4, s73
	v_add_u32_e32 v36, 0x1000, v36
	s_cbranch_scc1 .LBB7_260
; %bb.261:
	v_mov_b32_e32 v3, 0x7fff
	v_cmp_gt_i16_e32 vcc, 0, v5
	s_movk_i32 s3, 0x8000
	v_mov_b32_e32 v36, v2
	v_cndmask_b32_e64 v35, v3, 0, vcc
	v_xor_b32_e32 v35, v35, v5
	v_cmp_ne_u16_e32 vcc, s3, v35
	s_mov_b32 s3, s2
	s_mov_b32 s4, s72
	v_cndmask_b32_e32 v3, v3, v35, vcc
	v_mov_b32_e32 v35, 1
.LBB7_262:                              ; =>This Inner Loop Header: Depth=1
	s_min_u32 s5, s3, 8
	v_lshrrev_b32_sdwa v37, s4, v3 dst_sel:DWORD dst_unused:UNUSED_PAD src0_sel:DWORD src1_sel:WORD_0
	v_bfe_u32 v37, v37, 0, s5
	v_lshl_add_u32 v37, v37, 4, v36
	ds_add_u32 v37, v35
	s_add_i32 s4, s4, 8
	s_add_i32 s3, s3, -8
	s_cmp_lt_u32 s4, s73
	v_add_u32_e32 v36, 0x1000, v36
	s_cbranch_scc1 .LBB7_262
; %bb.263:
	v_mov_b32_e32 v3, 0x7fff
	v_cmp_gt_i16_e32 vcc, 0, v30
	s_movk_i32 s3, 0x8000
	v_mov_b32_e32 v36, v2
	v_cndmask_b32_e64 v35, v3, 0, vcc
	v_xor_b32_e32 v35, v35, v30
	v_cmp_ne_u16_e32 vcc, s3, v35
	s_mov_b32 s3, s2
	s_mov_b32 s4, s72
	v_cndmask_b32_e32 v3, v3, v35, vcc
	v_mov_b32_e32 v35, 1
.LBB7_264:                              ; =>This Inner Loop Header: Depth=1
	s_min_u32 s5, s3, 8
	v_lshrrev_b32_sdwa v37, s4, v3 dst_sel:DWORD dst_unused:UNUSED_PAD src0_sel:DWORD src1_sel:WORD_0
	v_bfe_u32 v37, v37, 0, s5
	v_lshl_add_u32 v37, v37, 4, v36
	ds_add_u32 v37, v35
	s_add_i32 s4, s4, 8
	s_add_i32 s3, s3, -8
	s_cmp_lt_u32 s4, s73
	v_add_u32_e32 v36, 0x1000, v36
	s_cbranch_scc1 .LBB7_264
; %bb.265:
	v_mov_b32_e32 v3, 0x7fff
	s_waitcnt vmcnt(0)
	v_cmp_gt_i16_e32 vcc, 0, v4
	s_movk_i32 s3, 0x8000
	s_nop 0
	v_cndmask_b32_e64 v35, v3, 0, vcc
	v_xor_b32_e32 v35, v35, v4
	v_cmp_ne_u16_e32 vcc, s3, v35
	s_mov_b32 s3, s72
	s_nop 0
	v_cndmask_b32_e32 v3, v3, v35, vcc
	v_mov_b32_e32 v35, 1
.LBB7_266:                              ; =>This Inner Loop Header: Depth=1
	s_min_u32 s4, s2, 8
	v_lshrrev_b32_sdwa v36, s3, v3 dst_sel:DWORD dst_unused:UNUSED_PAD src0_sel:DWORD src1_sel:WORD_0
	v_bfe_u32 v36, v36, 0, s4
	v_lshl_add_u32 v36, v36, 4, v2
	ds_add_u32 v36, v35
	s_add_i32 s3, s3, 8
	s_add_i32 s2, s2, -8
	s_cmp_lt_u32 s3, s73
	v_add_u32_e32 v2, 0x1000, v2
	s_cbranch_scc1 .LBB7_266
.LBB7_267:
	s_and_b64 vcc, exec, s[0:1]
	s_waitcnt lgkmcnt(0)
	s_barrier
	s_cbranch_vccz .LBB7_272
; %bb.268:
	s_movk_i32 s0, 0x100
	v_cmp_gt_u32_e32 vcc, s0, v0
	v_lshlrev_b32_e32 v35, 4, v0
	v_mov_b32_e32 v3, 0
	v_mov_b32_e32 v2, v0
	s_branch .LBB7_270
.LBB7_269:                              ;   in Loop: Header=BB7_270 Depth=1
	s_or_b64 exec, exec, s[0:1]
	s_add_i32 s72, s72, 8
	v_add_u32_e32 v2, 0x100, v2
	s_cmp_ge_u32 s72, s73
	v_add_u32_e32 v35, 0x1000, v35
	s_cbranch_scc1 .LBB7_272
.LBB7_270:                              ; =>This Inner Loop Header: Depth=1
	s_and_saveexec_b64 s[0:1], vcc
	s_cbranch_execz .LBB7_269
; %bb.271:                              ;   in Loop: Header=BB7_270 Depth=1
	ds_read2_b32 v[36:37], v35 offset1:1
	ds_read2_b32 v[38:39], v35 offset0:2 offset1:3
	v_lshl_add_u64 v[40:41], v[2:3], 3, s[66:67]
	s_waitcnt lgkmcnt(1)
	v_add_u32_e32 v36, v37, v36
	s_waitcnt lgkmcnt(0)
	v_add3_u32 v36, v36, v38, v39
	v_mov_b32_e32 v37, v3
	global_atomic_add_x2 v[40:41], v[36:37], off
	s_branch .LBB7_269
.LBB7_272:
	s_mov_b64 s[0:1], 0
.LBB7_273:
	s_and_b64 vcc, exec, s[0:1]
	s_cbranch_vccz .LBB7_276
; %bb.274:
	v_mov_b32_e32 v2, 0x7fff
	s_waitcnt vmcnt(1)
	v_cmp_gt_i16_e32 vcc, 0, v34
	s_movk_i32 s0, 0x8000
	s_movk_i32 s1, 0x3fc
	v_cndmask_b32_e64 v3, v2, 0, vcc
	v_cmp_gt_i16_e32 vcc, 0, v1
	v_xor_b32_e32 v34, v3, v34
	s_barrier
	v_cndmask_b32_e64 v3, v2, 0, vcc
	v_cmp_gt_i16_e32 vcc, 0, v13
	v_xor_b32_e32 v35, v3, v1
	s_nop 0
	v_cndmask_b32_e64 v1, v2, 0, vcc
	v_cmp_gt_i16_e32 vcc, 0, v12
	v_xor_b32_e32 v36, v1, v13
	s_nop 0
	;; [unrolled: 4-line block ×29, first 2 shown]
	v_cndmask_b32_e64 v1, v2, 0, vcc
	s_waitcnt vmcnt(0)
	v_cmp_gt_i16_e32 vcc, 0, v4
	v_xor_b32_e32 v5, v1, v30
	s_nop 0
	v_cndmask_b32_e64 v1, v2, 0, vcc
	v_cmp_ne_u16_e32 vcc, s0, v34
	v_xor_b32_e32 v3, v1, v4
	v_and_b32_e32 v1, 3, v0
	v_cndmask_b32_e32 v4, v2, v34, vcc
	v_and_b32_e32 v22, 0xffff, v4
	v_lshlrev_b32_e32 v4, 2, v22
	v_and_or_b32 v4, v4, s1, v1
	v_bfe_u32 v22, v22, 8, 8
	v_lshlrev_b32_e32 v23, 2, v4
	v_mov_b32_e32 v4, 1
	v_lshl_or_b32 v22, v22, 2, v1
	ds_add_u32 v23, v4
	v_lshlrev_b32_e32 v22, 2, v22
	v_cmp_ne_u16_e32 vcc, s0, v35
	ds_add_u32 v22, v4 offset:4096
	s_nop 0
	v_cndmask_b32_e32 v22, v2, v35, vcc
	v_and_b32_e32 v22, 0xffff, v22
	v_lshlrev_b32_e32 v23, 2, v22
	v_and_or_b32 v23, v23, s1, v1
	v_bfe_u32 v22, v22, 8, 8
	v_lshlrev_b32_e32 v23, 2, v23
	v_lshl_or_b32 v22, v22, 2, v1
	ds_add_u32 v23, v4
	v_lshlrev_b32_e32 v22, 2, v22
	v_cmp_ne_u16_e32 vcc, s0, v36
	ds_add_u32 v22, v4 offset:4096
	s_nop 0
	v_cndmask_b32_e32 v22, v2, v36, vcc
	v_and_b32_e32 v22, 0xffff, v22
	v_lshlrev_b32_e32 v23, 2, v22
	v_and_or_b32 v23, v23, s1, v1
	v_bfe_u32 v22, v22, 8, 8
	v_lshlrev_b32_e32 v23, 2, v23
	;; [unrolled: 12-line block ×8, first 2 shown]
	v_lshl_or_b32 v22, v22, 2, v1
	ds_add_u32 v23, v4
	v_lshlrev_b32_e32 v22, 2, v22
	v_cmp_ne_u16_e32 vcc, s0, v43
	ds_add_u32 v22, v4 offset:4096
	s_nop 0
	v_cndmask_b32_e32 v22, v2, v43, vcc
	v_and_b32_e32 v22, 0xffff, v22
	v_lshlrev_b32_e32 v23, 2, v22
	v_and_or_b32 v23, v23, s1, v1
	v_bfe_u32 v22, v22, 8, 8
	v_cmp_ne_u16_e32 vcc, s0, v21
	v_lshlrev_b32_e32 v23, 2, v23
	v_lshl_or_b32 v22, v22, 2, v1
	v_cndmask_b32_e32 v21, v2, v21, vcc
	ds_add_u32 v23, v4
	v_lshlrev_b32_e32 v22, 2, v22
	v_and_b32_e32 v21, 0xffff, v21
	ds_add_u32 v22, v4 offset:4096
	v_lshlrev_b32_e32 v22, 2, v21
	v_and_or_b32 v22, v22, s1, v1
	v_bfe_u32 v21, v21, 8, 8
	v_cmp_ne_u16_e32 vcc, s0, v20
	v_lshlrev_b32_e32 v22, 2, v22
	v_lshl_or_b32 v21, v21, 2, v1
	v_cndmask_b32_e32 v20, v2, v20, vcc
	ds_add_u32 v22, v4
	v_lshlrev_b32_e32 v21, 2, v21
	v_and_b32_e32 v20, 0xffff, v20
	ds_add_u32 v21, v4 offset:4096
	;; [unrolled: 11-line block ×5, first 2 shown]
	v_lshlrev_b32_e32 v18, 2, v17
	v_and_or_b32 v18, v18, s1, v1
	v_bfe_u32 v17, v17, 8, 8
	v_lshlrev_b32_e32 v18, 2, v18
	v_lshl_or_b32 v17, v17, 2, v1
	ds_add_u32 v18, v4
	v_lshlrev_b32_e32 v17, 2, v17
	v_cmp_ne_u16_e32 vcc, s0, v44
	ds_add_u32 v17, v4 offset:4096
	s_nop 0
	v_cndmask_b32_e32 v17, v2, v44, vcc
	v_and_b32_e32 v17, 0xffff, v17
	v_lshlrev_b32_e32 v18, 2, v17
	v_and_or_b32 v18, v18, s1, v1
	v_bfe_u32 v17, v17, 8, 8
	v_cmp_ne_u16_e32 vcc, s0, v16
	v_lshlrev_b32_e32 v18, 2, v18
	v_lshl_or_b32 v17, v17, 2, v1
	v_cndmask_b32_e32 v16, v2, v16, vcc
	ds_add_u32 v18, v4
	v_lshlrev_b32_e32 v17, 2, v17
	v_and_b32_e32 v16, 0xffff, v16
	ds_add_u32 v17, v4 offset:4096
	v_lshlrev_b32_e32 v17, 2, v16
	v_and_or_b32 v17, v17, s1, v1
	v_bfe_u32 v16, v16, 8, 8
	v_lshlrev_b32_e32 v17, 2, v17
	v_lshl_or_b32 v16, v16, 2, v1
	ds_add_u32 v17, v4
	v_lshlrev_b32_e32 v16, 2, v16
	v_cmp_ne_u16_e32 vcc, s0, v45
	ds_add_u32 v16, v4 offset:4096
	s_nop 0
	v_cndmask_b32_e32 v16, v2, v45, vcc
	v_and_b32_e32 v16, 0xffff, v16
	v_lshlrev_b32_e32 v17, 2, v16
	v_and_or_b32 v17, v17, s1, v1
	v_bfe_u32 v16, v16, 8, 8
	v_lshlrev_b32_e32 v17, 2, v17
	v_lshl_or_b32 v16, v16, 2, v1
	ds_add_u32 v17, v4
	v_lshlrev_b32_e32 v16, 2, v16
	v_cmp_ne_u16_e32 vcc, s0, v29
	ds_add_u32 v16, v4 offset:4096
	s_nop 0
	v_cndmask_b32_e32 v16, v2, v29, vcc
	v_and_b32_e32 v16, 0xffff, v16
	;; [unrolled: 12-line block ×3, first 2 shown]
	v_lshlrev_b32_e32 v17, 2, v16
	v_and_or_b32 v17, v17, s1, v1
	v_bfe_u32 v16, v16, 8, 8
	v_cmp_ne_u16_e32 vcc, s0, v15
	v_lshlrev_b32_e32 v17, 2, v17
	v_lshl_or_b32 v16, v16, 2, v1
	v_cndmask_b32_e32 v15, v2, v15, vcc
	ds_add_u32 v17, v4
	v_lshlrev_b32_e32 v16, 2, v16
	v_and_b32_e32 v15, 0xffff, v15
	ds_add_u32 v16, v4 offset:4096
	v_lshlrev_b32_e32 v16, 2, v15
	v_and_or_b32 v16, v16, s1, v1
	v_bfe_u32 v15, v15, 8, 8
	v_cmp_ne_u16_e32 vcc, s0, v14
	v_lshlrev_b32_e32 v16, 2, v16
	v_lshl_or_b32 v15, v15, 2, v1
	v_cndmask_b32_e32 v14, v2, v14, vcc
	ds_add_u32 v16, v4
	v_lshlrev_b32_e32 v15, 2, v15
	v_and_b32_e32 v14, 0xffff, v14
	ds_add_u32 v15, v4 offset:4096
	;; [unrolled: 11-line block ×10, first 2 shown]
	v_lshlrev_b32_e32 v7, 2, v6
	v_and_or_b32 v7, v7, s1, v1
	v_bfe_u32 v6, v6, 8, 8
	v_cmp_ne_u16_e32 vcc, s0, v5
	v_lshlrev_b32_e32 v7, 2, v7
	v_lshl_or_b32 v6, v6, 2, v1
	v_cndmask_b32_e32 v5, v2, v5, vcc
	ds_add_u32 v7, v4
	v_lshlrev_b32_e32 v6, 2, v6
	v_and_b32_e32 v5, 0xffff, v5
	v_cmp_ne_u16_e32 vcc, s0, v3
	ds_add_u32 v6, v4 offset:4096
	v_lshlrev_b32_e32 v6, 2, v5
	v_cndmask_b32_e32 v2, v2, v3, vcc
	v_and_or_b32 v6, v6, s1, v1
	v_bfe_u32 v5, v5, 8, 8
	v_and_b32_e32 v2, 0xffff, v2
	v_lshlrev_b32_e32 v6, 2, v6
	v_lshl_or_b32 v5, v5, 2, v1
	v_lshlrev_b32_e32 v3, 2, v2
	ds_add_u32 v6, v4
	v_lshlrev_b32_e32 v5, 2, v5
	v_and_or_b32 v3, v3, s1, v1
	v_bfe_u32 v2, v2, 8, 8
	ds_add_u32 v5, v4 offset:4096
	v_lshlrev_b32_e32 v3, 2, v3
	v_lshl_or_b32 v1, v2, 2, v1
	ds_add_u32 v3, v4
	v_lshlrev_b32_e32 v1, 2, v1
	ds_add_u32 v1, v4 offset:4096
	s_movk_i32 s0, 0x100
	v_cmp_gt_u32_e32 vcc, s0, v0
	s_waitcnt lgkmcnt(0)
	s_barrier
	s_and_saveexec_b64 s[0:1], vcc
	s_cbranch_execz .LBB7_276
; %bb.275:
	v_lshlrev_b32_e32 v6, 4, v0
	ds_read2_b32 v[2:3], v6 offset1:1
	ds_read2_b32 v[4:5], v6 offset0:2 offset1:3
	v_lshlrev_b32_e32 v7, 3, v0
	v_mov_b32_e32 v1, 0
	v_add_u32_e32 v8, 0x1000, v6
	s_waitcnt lgkmcnt(1)
	v_add_u32_e32 v0, v3, v2
	s_waitcnt lgkmcnt(0)
	v_add3_u32 v0, v0, v4, v5
	global_atomic_add_x2 v7, v[0:1], s[66:67]
	v_add_u32_e32 v0, 0x1008, v6
	ds_read2_b32 v[2:3], v8 offset1:1
	ds_read2_b32 v[4:5], v0 offset1:1
	s_waitcnt lgkmcnt(1)
	v_add_u32_e32 v0, v3, v2
	s_waitcnt lgkmcnt(0)
	v_add3_u32 v0, v0, v4, v5
	global_atomic_add_x2 v7, v[0:1], s[66:67] offset:2048
.LBB7_276:
	s_endpgm
	.section	.rodata,"a",@progbits
	.p2align	6, 0x0
	.amdhsa_kernel _ZN7rocprim17ROCPRIM_304000_NS6detail26onesweep_histograms_kernelINS1_34wrapped_radix_sort_onesweep_configINS0_14default_configE12hip_bfloat16N2at4cuda3cub6detail10OpaqueTypeILi8EEEEELb1EPKS5_mNS0_19identity_decomposerEEEvT1_PT2_SH_SH_T3_jj
		.amdhsa_group_segment_fixed_size 8192
		.amdhsa_private_segment_fixed_size 0
		.amdhsa_kernarg_size 44
		.amdhsa_user_sgpr_count 2
		.amdhsa_user_sgpr_dispatch_ptr 0
		.amdhsa_user_sgpr_queue_ptr 0
		.amdhsa_user_sgpr_kernarg_segment_ptr 1
		.amdhsa_user_sgpr_dispatch_id 0
		.amdhsa_user_sgpr_kernarg_preload_length 0
		.amdhsa_user_sgpr_kernarg_preload_offset 0
		.amdhsa_user_sgpr_private_segment_size 0
		.amdhsa_uses_dynamic_stack 0
		.amdhsa_enable_private_segment 0
		.amdhsa_system_sgpr_workgroup_id_x 1
		.amdhsa_system_sgpr_workgroup_id_y 0
		.amdhsa_system_sgpr_workgroup_id_z 0
		.amdhsa_system_sgpr_workgroup_info 0
		.amdhsa_system_vgpr_workitem_id 0
		.amdhsa_next_free_vgpr 46
		.amdhsa_next_free_sgpr 79
		.amdhsa_accum_offset 48
		.amdhsa_reserve_vcc 1
		.amdhsa_float_round_mode_32 0
		.amdhsa_float_round_mode_16_64 0
		.amdhsa_float_denorm_mode_32 3
		.amdhsa_float_denorm_mode_16_64 3
		.amdhsa_dx10_clamp 1
		.amdhsa_ieee_mode 1
		.amdhsa_fp16_overflow 0
		.amdhsa_tg_split 0
		.amdhsa_exception_fp_ieee_invalid_op 0
		.amdhsa_exception_fp_denorm_src 0
		.amdhsa_exception_fp_ieee_div_zero 0
		.amdhsa_exception_fp_ieee_overflow 0
		.amdhsa_exception_fp_ieee_underflow 0
		.amdhsa_exception_fp_ieee_inexact 0
		.amdhsa_exception_int_div_zero 0
	.end_amdhsa_kernel
	.section	.text._ZN7rocprim17ROCPRIM_304000_NS6detail26onesweep_histograms_kernelINS1_34wrapped_radix_sort_onesweep_configINS0_14default_configE12hip_bfloat16N2at4cuda3cub6detail10OpaqueTypeILi8EEEEELb1EPKS5_mNS0_19identity_decomposerEEEvT1_PT2_SH_SH_T3_jj,"axG",@progbits,_ZN7rocprim17ROCPRIM_304000_NS6detail26onesweep_histograms_kernelINS1_34wrapped_radix_sort_onesweep_configINS0_14default_configE12hip_bfloat16N2at4cuda3cub6detail10OpaqueTypeILi8EEEEELb1EPKS5_mNS0_19identity_decomposerEEEvT1_PT2_SH_SH_T3_jj,comdat
.Lfunc_end7:
	.size	_ZN7rocprim17ROCPRIM_304000_NS6detail26onesweep_histograms_kernelINS1_34wrapped_radix_sort_onesweep_configINS0_14default_configE12hip_bfloat16N2at4cuda3cub6detail10OpaqueTypeILi8EEEEELb1EPKS5_mNS0_19identity_decomposerEEEvT1_PT2_SH_SH_T3_jj, .Lfunc_end7-_ZN7rocprim17ROCPRIM_304000_NS6detail26onesweep_histograms_kernelINS1_34wrapped_radix_sort_onesweep_configINS0_14default_configE12hip_bfloat16N2at4cuda3cub6detail10OpaqueTypeILi8EEEEELb1EPKS5_mNS0_19identity_decomposerEEEvT1_PT2_SH_SH_T3_jj
                                        ; -- End function
	.section	.AMDGPU.csdata,"",@progbits
; Kernel info:
; codeLenInByte = 13504
; NumSgprs: 85
; NumVgprs: 46
; NumAgprs: 0
; TotalNumVgprs: 46
; ScratchSize: 0
; MemoryBound: 0
; FloatMode: 240
; IeeeMode: 1
; LDSByteSize: 8192 bytes/workgroup (compile time only)
; SGPRBlocks: 10
; VGPRBlocks: 5
; NumSGPRsForWavesPerEU: 85
; NumVGPRsForWavesPerEU: 46
; AccumOffset: 48
; Occupancy: 8
; WaveLimiterHint : 1
; COMPUTE_PGM_RSRC2:SCRATCH_EN: 0
; COMPUTE_PGM_RSRC2:USER_SGPR: 2
; COMPUTE_PGM_RSRC2:TRAP_HANDLER: 0
; COMPUTE_PGM_RSRC2:TGID_X_EN: 1
; COMPUTE_PGM_RSRC2:TGID_Y_EN: 0
; COMPUTE_PGM_RSRC2:TGID_Z_EN: 0
; COMPUTE_PGM_RSRC2:TIDIG_COMP_CNT: 0
; COMPUTE_PGM_RSRC3_GFX90A:ACCUM_OFFSET: 11
; COMPUTE_PGM_RSRC3_GFX90A:TG_SPLIT: 0
	.section	.text._ZN7rocprim17ROCPRIM_304000_NS6detail31onesweep_scan_histograms_kernelINS1_34wrapped_radix_sort_onesweep_configINS0_14default_configE12hip_bfloat16N2at4cuda3cub6detail10OpaqueTypeILi8EEEEEmEEvPT0_,"axG",@progbits,_ZN7rocprim17ROCPRIM_304000_NS6detail31onesweep_scan_histograms_kernelINS1_34wrapped_radix_sort_onesweep_configINS0_14default_configE12hip_bfloat16N2at4cuda3cub6detail10OpaqueTypeILi8EEEEEmEEvPT0_,comdat
	.protected	_ZN7rocprim17ROCPRIM_304000_NS6detail31onesweep_scan_histograms_kernelINS1_34wrapped_radix_sort_onesweep_configINS0_14default_configE12hip_bfloat16N2at4cuda3cub6detail10OpaqueTypeILi8EEEEEmEEvPT0_ ; -- Begin function _ZN7rocprim17ROCPRIM_304000_NS6detail31onesweep_scan_histograms_kernelINS1_34wrapped_radix_sort_onesweep_configINS0_14default_configE12hip_bfloat16N2at4cuda3cub6detail10OpaqueTypeILi8EEEEEmEEvPT0_
	.globl	_ZN7rocprim17ROCPRIM_304000_NS6detail31onesweep_scan_histograms_kernelINS1_34wrapped_radix_sort_onesweep_configINS0_14default_configE12hip_bfloat16N2at4cuda3cub6detail10OpaqueTypeILi8EEEEEmEEvPT0_
	.p2align	8
	.type	_ZN7rocprim17ROCPRIM_304000_NS6detail31onesweep_scan_histograms_kernelINS1_34wrapped_radix_sort_onesweep_configINS0_14default_configE12hip_bfloat16N2at4cuda3cub6detail10OpaqueTypeILi8EEEEEmEEvPT0_,@function
_ZN7rocprim17ROCPRIM_304000_NS6detail31onesweep_scan_histograms_kernelINS1_34wrapped_radix_sort_onesweep_configINS0_14default_configE12hip_bfloat16N2at4cuda3cub6detail10OpaqueTypeILi8EEEEEmEEvPT0_: ; @_ZN7rocprim17ROCPRIM_304000_NS6detail31onesweep_scan_histograms_kernelINS1_34wrapped_radix_sort_onesweep_configINS0_14default_configE12hip_bfloat16N2at4cuda3cub6detail10OpaqueTypeILi8EEEEEmEEvPT0_
; %bb.0:
	s_load_dwordx2 s[0:1], s[0:1], 0x0
	s_lshl_b32 s2, s2, 8
	s_mov_b32 s3, 0
	s_lshl_b64 s[2:3], s[2:3], 3
	v_lshlrev_b32_e32 v8, 3, v0
	s_waitcnt lgkmcnt(0)
	s_add_u32 s14, s0, s2
	s_movk_i32 s0, 0x100
	s_addc_u32 s15, s1, s3
	v_cmp_gt_u32_e32 vcc, s0, v0
                                        ; implicit-def: $vgpr2_vgpr3
	s_and_saveexec_b64 s[0:1], vcc
	s_cbranch_execz .LBB8_2
; %bb.1:
	global_load_dwordx2 v[2:3], v8, s[14:15]
.LBB8_2:
	s_or_b64 exec, exec, s[0:1]
	v_mov_b32_e32 v4, 0
	v_mbcnt_lo_u32_b32 v1, -1, 0
	v_mbcnt_hi_u32_b32 v9, -1, v1
	s_waitcnt vmcnt(0)
	v_mov_b32_dpp v6, v2 row_shr:1 row_mask:0xf bank_mask:0xf
	v_mov_b32_e32 v7, v4
	v_and_b32_e32 v1, 15, v9
	v_mov_b32_dpp v5, v3 row_shr:1 row_mask:0xf bank_mask:0xf
	v_lshl_add_u64 v[6:7], v[2:3], 0, v[6:7]
	v_lshl_add_u64 v[4:5], v[4:5], 0, v[6:7]
	v_cmp_eq_u32_e64 s[4:5], 0, v1
	v_cmp_lt_u32_e64 s[6:7], 1, v1
	v_cmp_lt_u32_e64 s[2:3], 3, v1
	v_cndmask_b32_e64 v10, v6, v2, s[4:5]
	v_cndmask_b32_e64 v5, v5, v3, s[4:5]
	v_cndmask_b32_e64 v4, v4, v2, s[4:5]
	v_mov_b32_dpp v6, v10 row_shr:2 row_mask:0xf bank_mask:0xf
	v_mov_b32_dpp v7, v5 row_shr:2 row_mask:0xf bank_mask:0xf
	v_lshl_add_u64 v[6:7], v[6:7], 0, v[4:5]
	v_cndmask_b32_e64 v10, v10, v6, s[6:7]
	v_cndmask_b32_e64 v5, v5, v7, s[6:7]
	v_cndmask_b32_e64 v4, v4, v6, s[6:7]
	v_mov_b32_dpp v6, v10 row_shr:4 row_mask:0xf bank_mask:0xf
	v_mov_b32_dpp v7, v5 row_shr:4 row_mask:0xf bank_mask:0xf
	v_lshl_add_u64 v[6:7], v[6:7], 0, v[4:5]
	v_cndmask_b32_e64 v10, v10, v6, s[2:3]
	v_cndmask_b32_e64 v5, v5, v7, s[2:3]
	v_cndmask_b32_e64 v4, v4, v6, s[2:3]
	v_mov_b32_dpp v6, v10 row_shr:8 row_mask:0xf bank_mask:0xf
	v_mov_b32_dpp v7, v5 row_shr:8 row_mask:0xf bank_mask:0xf
	v_lshl_add_u64 v[6:7], v[6:7], 0, v[4:5]
	v_cmp_lt_u32_e64 s[8:9], 7, v1
	v_cmp_eq_u32_e64 s[0:1], 0, v9
	v_cmp_ne_u32_e64 s[12:13], 0, v9
	v_cndmask_b32_e64 v1, v10, v6, s[8:9]
	v_cndmask_b32_e64 v5, v5, v7, s[8:9]
	;; [unrolled: 1-line block ×3, first 2 shown]
	v_mov_b32_dpp v6, v1 row_bcast:15 row_mask:0xf bank_mask:0xf
	v_mov_b32_dpp v7, v5 row_bcast:15 row_mask:0xf bank_mask:0xf
	v_and_b32_e32 v10, 16, v9
	v_lshl_add_u64 v[6:7], v[6:7], 0, v[4:5]
	v_cmp_eq_u32_e64 s[10:11], 0, v10
	s_nop 1
	v_cndmask_b32_e64 v10, v7, v5, s[10:11]
	v_cndmask_b32_e64 v1, v6, v1, s[10:11]
	s_nop 0
	v_mov_b32_dpp v10, v10 row_bcast:31 row_mask:0xf bank_mask:0xf
	v_mov_b32_dpp v1, v1 row_bcast:31 row_mask:0xf bank_mask:0xf
	s_and_saveexec_b64 s[16:17], s[12:13]
; %bb.3:
	v_cndmask_b32_e64 v3, v7, v5, s[10:11]
	v_cndmask_b32_e64 v2, v6, v4, s[10:11]
	v_cmp_lt_u32_e64 s[10:11], 31, v9
	s_nop 1
	v_cndmask_b32_e64 v5, 0, v10, s[10:11]
	v_cndmask_b32_e64 v4, 0, v1, s[10:11]
	v_lshl_add_u64 v[2:3], v[4:5], 0, v[2:3]
; %bb.4:
	s_or_b64 exec, exec, s[16:17]
	v_and_b32_e32 v1, 63, v0
	v_lshrrev_b32_e32 v4, 6, v0
	v_cmp_eq_u32_e64 s[10:11], 63, v1
	s_and_saveexec_b64 s[12:13], s[10:11]
	s_cbranch_execz .LBB8_6
; %bb.5:
	v_lshlrev_b32_e32 v1, 3, v4
	ds_write_b64 v1, v[2:3]
.LBB8_6:
	s_or_b64 exec, exec, s[12:13]
	v_cmp_gt_u32_e64 s[10:11], 16, v0
	s_waitcnt lgkmcnt(0)
	s_barrier
	s_and_saveexec_b64 s[12:13], s[10:11]
	s_cbranch_execz .LBB8_8
; %bb.7:
	ds_read_b64 v[6:7], v8
	v_mov_b32_e32 v10, 0
	v_mov_b32_e32 v13, v10
	s_waitcnt lgkmcnt(0)
	v_mov_b32_dpp v12, v6 row_shr:1 row_mask:0xf bank_mask:0xf
	v_mov_b32_dpp v11, v7 row_shr:1 row_mask:0xf bank_mask:0xf
	v_lshl_add_u64 v[12:13], v[6:7], 0, v[12:13]
	v_lshl_add_u64 v[14:15], v[10:11], 0, v[12:13]
	v_cndmask_b32_e64 v1, v12, v6, s[4:5]
	v_cndmask_b32_e64 v15, v15, v7, s[4:5]
	;; [unrolled: 1-line block ×3, first 2 shown]
	v_mov_b32_dpp v6, v1 row_shr:2 row_mask:0xf bank_mask:0xf
	v_mov_b32_e32 v7, v10
	v_mov_b32_dpp v11, v15 row_shr:2 row_mask:0xf bank_mask:0xf
	v_lshl_add_u64 v[6:7], v[14:15], 0, v[6:7]
	v_lshl_add_u64 v[12:13], v[6:7], 0, v[10:11]
	v_cndmask_b32_e64 v1, v1, v6, s[6:7]
	v_cndmask_b32_e64 v7, v15, v13, s[6:7]
	;; [unrolled: 1-line block ×3, first 2 shown]
	v_mov_b32_dpp v12, v1 row_shr:4 row_mask:0xf bank_mask:0xf
	v_mov_b32_e32 v13, v10
	v_mov_b32_dpp v11, v7 row_shr:4 row_mask:0xf bank_mask:0xf
	v_lshl_add_u64 v[12:13], v[6:7], 0, v[12:13]
	v_lshl_add_u64 v[10:11], v[12:13], 0, v[10:11]
	v_cndmask_b32_e64 v7, v7, v11, s[2:3]
	v_cndmask_b32_e64 v1, v1, v12, s[2:3]
	;; [unrolled: 1-line block ×3, first 2 shown]
	v_mov_b32_dpp v5, v7 row_shr:8 row_mask:0xf bank_mask:0xf
	v_mov_b32_dpp v1, v1 row_shr:8 row_mask:0xf bank_mask:0xf
	v_cndmask_b32_e64 v10, 0, v1, s[8:9]
	v_cndmask_b32_e64 v11, 0, v5, s[8:9]
	v_lshl_add_u64 v[6:7], v[10:11], 0, v[6:7]
	ds_write_b64 v8, v[6:7]
.LBB8_8:
	s_or_b64 exec, exec, s[12:13]
	v_cmp_lt_u32_e64 s[2:3], 63, v0
	v_mov_b64_e32 v[0:1], 0
	s_waitcnt lgkmcnt(0)
	s_barrier
	s_and_saveexec_b64 s[4:5], s[2:3]
	s_cbranch_execz .LBB8_10
; %bb.9:
	v_lshl_add_u32 v0, v4, 3, -8
	ds_read_b64 v[0:1], v0
.LBB8_10:
	s_or_b64 exec, exec, s[4:5]
	v_add_u32_e32 v4, -1, v9
	v_and_b32_e32 v5, 64, v9
	v_cmp_lt_i32_e64 s[2:3], v4, v5
	s_waitcnt lgkmcnt(0)
	v_lshl_add_u64 v[2:3], v[0:1], 0, v[2:3]
	v_cndmask_b32_e64 v4, v4, v9, s[2:3]
	v_lshlrev_b32_e32 v4, 2, v4
	ds_bpermute_b32 v2, v4, v2
	ds_bpermute_b32 v3, v4, v3
	s_and_saveexec_b64 s[2:3], vcc
	s_cbranch_execz .LBB8_12
; %bb.11:
	s_waitcnt lgkmcnt(0)
	v_cndmask_b32_e64 v1, v3, v1, s[0:1]
	v_cndmask_b32_e64 v0, v2, v0, s[0:1]
	global_store_dwordx2 v8, v[0:1], s[14:15]
.LBB8_12:
	s_endpgm
	.section	.rodata,"a",@progbits
	.p2align	6, 0x0
	.amdhsa_kernel _ZN7rocprim17ROCPRIM_304000_NS6detail31onesweep_scan_histograms_kernelINS1_34wrapped_radix_sort_onesweep_configINS0_14default_configE12hip_bfloat16N2at4cuda3cub6detail10OpaqueTypeILi8EEEEEmEEvPT0_
		.amdhsa_group_segment_fixed_size 128
		.amdhsa_private_segment_fixed_size 0
		.amdhsa_kernarg_size 8
		.amdhsa_user_sgpr_count 2
		.amdhsa_user_sgpr_dispatch_ptr 0
		.amdhsa_user_sgpr_queue_ptr 0
		.amdhsa_user_sgpr_kernarg_segment_ptr 1
		.amdhsa_user_sgpr_dispatch_id 0
		.amdhsa_user_sgpr_kernarg_preload_length 0
		.amdhsa_user_sgpr_kernarg_preload_offset 0
		.amdhsa_user_sgpr_private_segment_size 0
		.amdhsa_uses_dynamic_stack 0
		.amdhsa_enable_private_segment 0
		.amdhsa_system_sgpr_workgroup_id_x 1
		.amdhsa_system_sgpr_workgroup_id_y 0
		.amdhsa_system_sgpr_workgroup_id_z 0
		.amdhsa_system_sgpr_workgroup_info 0
		.amdhsa_system_vgpr_workitem_id 0
		.amdhsa_next_free_vgpr 16
		.amdhsa_next_free_sgpr 18
		.amdhsa_accum_offset 16
		.amdhsa_reserve_vcc 1
		.amdhsa_float_round_mode_32 0
		.amdhsa_float_round_mode_16_64 0
		.amdhsa_float_denorm_mode_32 3
		.amdhsa_float_denorm_mode_16_64 3
		.amdhsa_dx10_clamp 1
		.amdhsa_ieee_mode 1
		.amdhsa_fp16_overflow 0
		.amdhsa_tg_split 0
		.amdhsa_exception_fp_ieee_invalid_op 0
		.amdhsa_exception_fp_denorm_src 0
		.amdhsa_exception_fp_ieee_div_zero 0
		.amdhsa_exception_fp_ieee_overflow 0
		.amdhsa_exception_fp_ieee_underflow 0
		.amdhsa_exception_fp_ieee_inexact 0
		.amdhsa_exception_int_div_zero 0
	.end_amdhsa_kernel
	.section	.text._ZN7rocprim17ROCPRIM_304000_NS6detail31onesweep_scan_histograms_kernelINS1_34wrapped_radix_sort_onesweep_configINS0_14default_configE12hip_bfloat16N2at4cuda3cub6detail10OpaqueTypeILi8EEEEEmEEvPT0_,"axG",@progbits,_ZN7rocprim17ROCPRIM_304000_NS6detail31onesweep_scan_histograms_kernelINS1_34wrapped_radix_sort_onesweep_configINS0_14default_configE12hip_bfloat16N2at4cuda3cub6detail10OpaqueTypeILi8EEEEEmEEvPT0_,comdat
.Lfunc_end8:
	.size	_ZN7rocprim17ROCPRIM_304000_NS6detail31onesweep_scan_histograms_kernelINS1_34wrapped_radix_sort_onesweep_configINS0_14default_configE12hip_bfloat16N2at4cuda3cub6detail10OpaqueTypeILi8EEEEEmEEvPT0_, .Lfunc_end8-_ZN7rocprim17ROCPRIM_304000_NS6detail31onesweep_scan_histograms_kernelINS1_34wrapped_radix_sort_onesweep_configINS0_14default_configE12hip_bfloat16N2at4cuda3cub6detail10OpaqueTypeILi8EEEEEmEEvPT0_
                                        ; -- End function
	.section	.AMDGPU.csdata,"",@progbits
; Kernel info:
; codeLenInByte = 936
; NumSgprs: 24
; NumVgprs: 16
; NumAgprs: 0
; TotalNumVgprs: 16
; ScratchSize: 0
; MemoryBound: 0
; FloatMode: 240
; IeeeMode: 1
; LDSByteSize: 128 bytes/workgroup (compile time only)
; SGPRBlocks: 2
; VGPRBlocks: 1
; NumSGPRsForWavesPerEU: 24
; NumVGPRsForWavesPerEU: 16
; AccumOffset: 16
; Occupancy: 8
; WaveLimiterHint : 0
; COMPUTE_PGM_RSRC2:SCRATCH_EN: 0
; COMPUTE_PGM_RSRC2:USER_SGPR: 2
; COMPUTE_PGM_RSRC2:TRAP_HANDLER: 0
; COMPUTE_PGM_RSRC2:TGID_X_EN: 1
; COMPUTE_PGM_RSRC2:TGID_Y_EN: 0
; COMPUTE_PGM_RSRC2:TGID_Z_EN: 0
; COMPUTE_PGM_RSRC2:TIDIG_COMP_CNT: 0
; COMPUTE_PGM_RSRC3_GFX90A:ACCUM_OFFSET: 3
; COMPUTE_PGM_RSRC3_GFX90A:TG_SPLIT: 0
	.section	.text._ZN7rocprim17ROCPRIM_304000_NS6detail16transform_kernelINS1_24wrapped_transform_configINS0_14default_configE12hip_bfloat16EES5_PKS5_PS5_NS0_8identityIS5_EEEEvT1_mT2_T3_,"axG",@progbits,_ZN7rocprim17ROCPRIM_304000_NS6detail16transform_kernelINS1_24wrapped_transform_configINS0_14default_configE12hip_bfloat16EES5_PKS5_PS5_NS0_8identityIS5_EEEEvT1_mT2_T3_,comdat
	.protected	_ZN7rocprim17ROCPRIM_304000_NS6detail16transform_kernelINS1_24wrapped_transform_configINS0_14default_configE12hip_bfloat16EES5_PKS5_PS5_NS0_8identityIS5_EEEEvT1_mT2_T3_ ; -- Begin function _ZN7rocprim17ROCPRIM_304000_NS6detail16transform_kernelINS1_24wrapped_transform_configINS0_14default_configE12hip_bfloat16EES5_PKS5_PS5_NS0_8identityIS5_EEEEvT1_mT2_T3_
	.globl	_ZN7rocprim17ROCPRIM_304000_NS6detail16transform_kernelINS1_24wrapped_transform_configINS0_14default_configE12hip_bfloat16EES5_PKS5_PS5_NS0_8identityIS5_EEEEvT1_mT2_T3_
	.p2align	8
	.type	_ZN7rocprim17ROCPRIM_304000_NS6detail16transform_kernelINS1_24wrapped_transform_configINS0_14default_configE12hip_bfloat16EES5_PKS5_PS5_NS0_8identityIS5_EEEEvT1_mT2_T3_,@function
_ZN7rocprim17ROCPRIM_304000_NS6detail16transform_kernelINS1_24wrapped_transform_configINS0_14default_configE12hip_bfloat16EES5_PKS5_PS5_NS0_8identityIS5_EEEEvT1_mT2_T3_: ; @_ZN7rocprim17ROCPRIM_304000_NS6detail16transform_kernelINS1_24wrapped_transform_configINS0_14default_configE12hip_bfloat16EES5_PKS5_PS5_NS0_8identityIS5_EEEEvT1_mT2_T3_
; %bb.0:
	s_load_dword s3, s[0:1], 0x20
	s_load_dwordx4 s[4:7], s[0:1], 0x0
	s_load_dwordx2 s[28:29], s[0:1], 0x10
	s_lshl_b32 s0, s2, 11
	s_mov_b32 s1, 0
	s_waitcnt lgkmcnt(0)
	s_add_i32 s3, s3, -1
	s_lshl_b64 s[30:31], s[0:1], 1
	s_add_u32 s4, s4, s30
	s_addc_u32 s5, s5, s31
	v_mov_b32_e32 v3, 0
	v_lshlrev_b32_e32 v2, 1, v0
	s_cmp_lg_u32 s2, s3
	v_lshl_add_u64 v[4:5], s[4:5], 0, v[2:3]
	s_cbranch_scc0 .LBB9_2
; %bb.1:
	global_load_ushort v1, v[4:5], off
	global_load_ushort v3, v[4:5], off offset:256
	global_load_ushort v6, v[4:5], off offset:512
	;; [unrolled: 1-line block ×15, first 2 shown]
	s_add_u32 s4, s28, s30
	s_addc_u32 s5, s29, s31
	s_mov_b64 s[34:35], -1
	s_waitcnt vmcnt(15)
	global_store_short v2, v1, s[4:5]
	s_waitcnt vmcnt(15)
	global_store_short v2, v3, s[4:5] offset:256
	s_waitcnt vmcnt(15)
	global_store_short v2, v6, s[4:5] offset:512
	;; [unrolled: 2-line block ×14, first 2 shown]
	s_cbranch_execz .LBB9_3
	s_branch .LBB9_52
.LBB9_2:
	s_mov_b64 s[34:35], 0
                                        ; implicit-def: $vgpr8
.LBB9_3:
	s_sub_i32 s33, s6, s0
	v_cmp_gt_u32_e32 vcc, s33, v0
                                        ; implicit-def: $vgpr6
	s_and_saveexec_b64 s[0:1], vcc
	s_cbranch_execz .LBB9_5
; %bb.4:
	global_load_ushort v6, v[4:5], off
.LBB9_5:
	s_or_b64 exec, exec, s[0:1]
	v_or_b32_e32 v1, 0x80, v0
	v_cmp_gt_u32_e64 s[0:1], s33, v1
                                        ; implicit-def: $vgpr7
	s_and_saveexec_b64 s[2:3], s[0:1]
	s_cbranch_execz .LBB9_7
; %bb.6:
	global_load_ushort v7, v[4:5], off offset:256
.LBB9_7:
	s_or_b64 exec, exec, s[2:3]
	v_or_b32_e32 v1, 0x100, v0
	v_cmp_gt_u32_e64 s[2:3], s33, v1
                                        ; implicit-def: $vgpr9
	s_and_saveexec_b64 s[4:5], s[2:3]
	s_cbranch_execz .LBB9_9
; %bb.8:
	global_load_ushort v9, v[4:5], off offset:512
.LBB9_9:
	s_or_b64 exec, exec, s[4:5]
	v_or_b32_e32 v1, 0x180, v0
	v_cmp_gt_u32_e64 s[4:5], s33, v1
                                        ; implicit-def: $vgpr10
	s_and_saveexec_b64 s[6:7], s[4:5]
	s_cbranch_execz .LBB9_11
; %bb.10:
	global_load_ushort v10, v[4:5], off offset:768
.LBB9_11:
	s_or_b64 exec, exec, s[6:7]
	v_or_b32_e32 v1, 0x200, v0
	v_cmp_gt_u32_e64 s[6:7], s33, v1
                                        ; implicit-def: $vgpr11
	s_and_saveexec_b64 s[8:9], s[6:7]
	s_cbranch_execz .LBB9_13
; %bb.12:
	global_load_ushort v11, v[4:5], off offset:1024
.LBB9_13:
	s_or_b64 exec, exec, s[8:9]
	v_or_b32_e32 v1, 0x280, v0
	v_cmp_gt_u32_e64 s[8:9], s33, v1
                                        ; implicit-def: $vgpr12
	s_and_saveexec_b64 s[10:11], s[8:9]
	s_cbranch_execz .LBB9_15
; %bb.14:
	global_load_ushort v12, v[4:5], off offset:1280
.LBB9_15:
	s_or_b64 exec, exec, s[10:11]
	v_or_b32_e32 v1, 0x300, v0
	v_cmp_gt_u32_e64 s[10:11], s33, v1
                                        ; implicit-def: $vgpr13
	s_and_saveexec_b64 s[12:13], s[10:11]
	s_cbranch_execz .LBB9_17
; %bb.16:
	global_load_ushort v13, v[4:5], off offset:1536
.LBB9_17:
	s_or_b64 exec, exec, s[12:13]
	v_or_b32_e32 v1, 0x380, v0
	v_cmp_gt_u32_e64 s[12:13], s33, v1
                                        ; implicit-def: $vgpr14
	s_and_saveexec_b64 s[14:15], s[12:13]
	s_cbranch_execz .LBB9_19
; %bb.18:
	global_load_ushort v14, v[4:5], off offset:1792
.LBB9_19:
	s_or_b64 exec, exec, s[14:15]
	v_or_b32_e32 v1, 0x400, v0
	v_cmp_gt_u32_e64 s[14:15], s33, v1
                                        ; implicit-def: $vgpr15
	s_and_saveexec_b64 s[16:17], s[14:15]
	s_cbranch_execz .LBB9_21
; %bb.20:
	global_load_ushort v15, v[4:5], off offset:2048
.LBB9_21:
	s_or_b64 exec, exec, s[16:17]
	v_or_b32_e32 v1, 0x480, v0
	v_cmp_gt_u32_e64 s[16:17], s33, v1
                                        ; implicit-def: $vgpr16
	s_and_saveexec_b64 s[18:19], s[16:17]
	s_cbranch_execz .LBB9_23
; %bb.22:
	global_load_ushort v16, v[4:5], off offset:2304
.LBB9_23:
	s_or_b64 exec, exec, s[18:19]
	v_or_b32_e32 v1, 0x500, v0
	v_cmp_gt_u32_e64 s[18:19], s33, v1
                                        ; implicit-def: $vgpr17
	s_and_saveexec_b64 s[20:21], s[18:19]
	s_cbranch_execz .LBB9_25
; %bb.24:
	global_load_ushort v17, v[4:5], off offset:2560
.LBB9_25:
	s_or_b64 exec, exec, s[20:21]
	v_or_b32_e32 v1, 0x580, v0
	v_cmp_gt_u32_e64 s[20:21], s33, v1
                                        ; implicit-def: $vgpr18
	s_and_saveexec_b64 s[22:23], s[20:21]
	s_cbranch_execz .LBB9_27
; %bb.26:
	global_load_ushort v18, v[4:5], off offset:2816
.LBB9_27:
	s_or_b64 exec, exec, s[22:23]
	v_or_b32_e32 v1, 0x600, v0
	v_cmp_gt_u32_e64 s[22:23], s33, v1
                                        ; implicit-def: $vgpr19
	s_and_saveexec_b64 s[24:25], s[22:23]
	s_cbranch_execz .LBB9_29
; %bb.28:
	global_load_ushort v19, v[4:5], off offset:3072
.LBB9_29:
	s_or_b64 exec, exec, s[24:25]
	v_or_b32_e32 v1, 0x680, v0
	v_cmp_gt_u32_e64 s[24:25], s33, v1
                                        ; implicit-def: $vgpr20
	s_and_saveexec_b64 s[26:27], s[24:25]
	s_cbranch_execz .LBB9_31
; %bb.30:
	global_load_ushort v20, v[4:5], off offset:3328
.LBB9_31:
	s_or_b64 exec, exec, s[26:27]
	v_or_b32_e32 v1, 0x700, v0
	v_cmp_gt_u32_e64 s[26:27], s33, v1
                                        ; implicit-def: $vgpr21
	s_and_saveexec_b64 s[34:35], s[26:27]
	s_cbranch_execz .LBB9_33
; %bb.32:
	global_load_ushort v21, v[4:5], off offset:3584
.LBB9_33:
	s_or_b64 exec, exec, s[34:35]
	v_or_b32_e32 v0, 0x780, v0
	v_cmp_gt_u32_e64 s[34:35], s33, v0
                                        ; implicit-def: $vgpr8
	s_and_saveexec_b64 s[36:37], s[34:35]
	s_cbranch_execz .LBB9_35
; %bb.34:
	global_load_ushort v8, v[4:5], off offset:3840
.LBB9_35:
	s_or_b64 exec, exec, s[36:37]
	s_add_u32 s36, s28, s30
	s_addc_u32 s37, s29, s31
	v_mov_b32_e32 v3, 0
	v_lshl_add_u64 v[0:1], s[36:37], 0, v[2:3]
	s_and_saveexec_b64 s[36:37], vcc
	s_xor_b64 s[36:37], exec, s[36:37]
	s_cbranch_execnz .LBB9_55
; %bb.36:
	s_or_b64 exec, exec, s[36:37]
	s_and_saveexec_b64 s[36:37], s[0:1]
	s_cbranch_execnz .LBB9_56
.LBB9_37:
	s_or_b64 exec, exec, s[36:37]
	s_and_saveexec_b64 s[0:1], s[2:3]
	s_cbranch_execnz .LBB9_57
.LBB9_38:
	s_or_b64 exec, exec, s[0:1]
	s_and_saveexec_b64 s[0:1], s[4:5]
	s_cbranch_execnz .LBB9_58
.LBB9_39:
	s_or_b64 exec, exec, s[0:1]
	s_and_saveexec_b64 s[0:1], s[6:7]
	s_cbranch_execnz .LBB9_59
.LBB9_40:
	s_or_b64 exec, exec, s[0:1]
	s_and_saveexec_b64 s[0:1], s[8:9]
	s_cbranch_execnz .LBB9_60
.LBB9_41:
	s_or_b64 exec, exec, s[0:1]
	s_and_saveexec_b64 s[0:1], s[10:11]
	s_cbranch_execnz .LBB9_61
.LBB9_42:
	s_or_b64 exec, exec, s[0:1]
	s_and_saveexec_b64 s[0:1], s[12:13]
	s_cbranch_execnz .LBB9_62
.LBB9_43:
	s_or_b64 exec, exec, s[0:1]
	s_and_saveexec_b64 s[0:1], s[14:15]
	s_cbranch_execnz .LBB9_63
.LBB9_44:
	s_or_b64 exec, exec, s[0:1]
	s_and_saveexec_b64 s[0:1], s[16:17]
	s_cbranch_execnz .LBB9_64
.LBB9_45:
	s_or_b64 exec, exec, s[0:1]
	s_and_saveexec_b64 s[0:1], s[18:19]
	s_cbranch_execnz .LBB9_65
.LBB9_46:
	s_or_b64 exec, exec, s[0:1]
	s_and_saveexec_b64 s[0:1], s[20:21]
	s_cbranch_execnz .LBB9_66
.LBB9_47:
	s_or_b64 exec, exec, s[0:1]
	s_and_saveexec_b64 s[0:1], s[22:23]
	s_cbranch_execnz .LBB9_67
.LBB9_48:
	s_or_b64 exec, exec, s[0:1]
	s_and_saveexec_b64 s[0:1], s[24:25]
	s_cbranch_execnz .LBB9_68
.LBB9_49:
	s_or_b64 exec, exec, s[0:1]
	s_and_saveexec_b64 s[0:1], s[26:27]
	s_cbranch_execz .LBB9_51
.LBB9_50:
	s_waitcnt vmcnt(0)
	global_store_short v[0:1], v21, off offset:3584
.LBB9_51:
	s_or_b64 exec, exec, s[0:1]
.LBB9_52:
	s_and_saveexec_b64 s[0:1], s[34:35]
	s_cbranch_execnz .LBB9_54
; %bb.53:
	s_endpgm
.LBB9_54:
	s_add_u32 s0, s28, s30
	s_addc_u32 s1, s29, s31
	s_waitcnt vmcnt(0)
	global_store_short v2, v8, s[0:1] offset:3840
	s_endpgm
.LBB9_55:
	s_waitcnt vmcnt(0)
	global_store_short v[0:1], v6, off
	s_or_b64 exec, exec, s[36:37]
	s_and_saveexec_b64 s[36:37], s[0:1]
	s_cbranch_execz .LBB9_37
.LBB9_56:
	s_waitcnt vmcnt(0)
	global_store_short v[0:1], v7, off offset:256
	s_or_b64 exec, exec, s[36:37]
	s_and_saveexec_b64 s[0:1], s[2:3]
	s_cbranch_execz .LBB9_38
.LBB9_57:
	s_waitcnt vmcnt(0)
	global_store_short v[0:1], v9, off offset:512
	s_or_b64 exec, exec, s[0:1]
	s_and_saveexec_b64 s[0:1], s[4:5]
	s_cbranch_execz .LBB9_39
.LBB9_58:
	s_waitcnt vmcnt(0)
	global_store_short v[0:1], v10, off offset:768
	s_or_b64 exec, exec, s[0:1]
	s_and_saveexec_b64 s[0:1], s[6:7]
	s_cbranch_execz .LBB9_40
.LBB9_59:
	s_waitcnt vmcnt(0)
	global_store_short v[0:1], v11, off offset:1024
	s_or_b64 exec, exec, s[0:1]
	s_and_saveexec_b64 s[0:1], s[8:9]
	s_cbranch_execz .LBB9_41
.LBB9_60:
	s_waitcnt vmcnt(0)
	global_store_short v[0:1], v12, off offset:1280
	s_or_b64 exec, exec, s[0:1]
	s_and_saveexec_b64 s[0:1], s[10:11]
	s_cbranch_execz .LBB9_42
.LBB9_61:
	s_waitcnt vmcnt(0)
	global_store_short v[0:1], v13, off offset:1536
	s_or_b64 exec, exec, s[0:1]
	s_and_saveexec_b64 s[0:1], s[12:13]
	s_cbranch_execz .LBB9_43
.LBB9_62:
	s_waitcnt vmcnt(0)
	global_store_short v[0:1], v14, off offset:1792
	s_or_b64 exec, exec, s[0:1]
	s_and_saveexec_b64 s[0:1], s[14:15]
	s_cbranch_execz .LBB9_44
.LBB9_63:
	s_waitcnt vmcnt(0)
	global_store_short v[0:1], v15, off offset:2048
	s_or_b64 exec, exec, s[0:1]
	s_and_saveexec_b64 s[0:1], s[16:17]
	s_cbranch_execz .LBB9_45
.LBB9_64:
	s_waitcnt vmcnt(0)
	global_store_short v[0:1], v16, off offset:2304
	s_or_b64 exec, exec, s[0:1]
	s_and_saveexec_b64 s[0:1], s[18:19]
	s_cbranch_execz .LBB9_46
.LBB9_65:
	s_waitcnt vmcnt(0)
	global_store_short v[0:1], v17, off offset:2560
	s_or_b64 exec, exec, s[0:1]
	s_and_saveexec_b64 s[0:1], s[20:21]
	s_cbranch_execz .LBB9_47
.LBB9_66:
	s_waitcnt vmcnt(0)
	global_store_short v[0:1], v18, off offset:2816
	s_or_b64 exec, exec, s[0:1]
	s_and_saveexec_b64 s[0:1], s[22:23]
	s_cbranch_execz .LBB9_48
.LBB9_67:
	s_waitcnt vmcnt(0)
	global_store_short v[0:1], v19, off offset:3072
	s_or_b64 exec, exec, s[0:1]
	s_and_saveexec_b64 s[0:1], s[24:25]
	s_cbranch_execz .LBB9_49
.LBB9_68:
	s_waitcnt vmcnt(0)
	global_store_short v[0:1], v20, off offset:3328
	s_or_b64 exec, exec, s[0:1]
	s_and_saveexec_b64 s[0:1], s[26:27]
	s_cbranch_execnz .LBB9_50
	s_branch .LBB9_51
	.section	.rodata,"a",@progbits
	.p2align	6, 0x0
	.amdhsa_kernel _ZN7rocprim17ROCPRIM_304000_NS6detail16transform_kernelINS1_24wrapped_transform_configINS0_14default_configE12hip_bfloat16EES5_PKS5_PS5_NS0_8identityIS5_EEEEvT1_mT2_T3_
		.amdhsa_group_segment_fixed_size 0
		.amdhsa_private_segment_fixed_size 0
		.amdhsa_kernarg_size 288
		.amdhsa_user_sgpr_count 2
		.amdhsa_user_sgpr_dispatch_ptr 0
		.amdhsa_user_sgpr_queue_ptr 0
		.amdhsa_user_sgpr_kernarg_segment_ptr 1
		.amdhsa_user_sgpr_dispatch_id 0
		.amdhsa_user_sgpr_kernarg_preload_length 0
		.amdhsa_user_sgpr_kernarg_preload_offset 0
		.amdhsa_user_sgpr_private_segment_size 0
		.amdhsa_uses_dynamic_stack 0
		.amdhsa_enable_private_segment 0
		.amdhsa_system_sgpr_workgroup_id_x 1
		.amdhsa_system_sgpr_workgroup_id_y 0
		.amdhsa_system_sgpr_workgroup_id_z 0
		.amdhsa_system_sgpr_workgroup_info 0
		.amdhsa_system_vgpr_workitem_id 0
		.amdhsa_next_free_vgpr 22
		.amdhsa_next_free_sgpr 38
		.amdhsa_accum_offset 24
		.amdhsa_reserve_vcc 1
		.amdhsa_float_round_mode_32 0
		.amdhsa_float_round_mode_16_64 0
		.amdhsa_float_denorm_mode_32 3
		.amdhsa_float_denorm_mode_16_64 3
		.amdhsa_dx10_clamp 1
		.amdhsa_ieee_mode 1
		.amdhsa_fp16_overflow 0
		.amdhsa_tg_split 0
		.amdhsa_exception_fp_ieee_invalid_op 0
		.amdhsa_exception_fp_denorm_src 0
		.amdhsa_exception_fp_ieee_div_zero 0
		.amdhsa_exception_fp_ieee_overflow 0
		.amdhsa_exception_fp_ieee_underflow 0
		.amdhsa_exception_fp_ieee_inexact 0
		.amdhsa_exception_int_div_zero 0
	.end_amdhsa_kernel
	.section	.text._ZN7rocprim17ROCPRIM_304000_NS6detail16transform_kernelINS1_24wrapped_transform_configINS0_14default_configE12hip_bfloat16EES5_PKS5_PS5_NS0_8identityIS5_EEEEvT1_mT2_T3_,"axG",@progbits,_ZN7rocprim17ROCPRIM_304000_NS6detail16transform_kernelINS1_24wrapped_transform_configINS0_14default_configE12hip_bfloat16EES5_PKS5_PS5_NS0_8identityIS5_EEEEvT1_mT2_T3_,comdat
.Lfunc_end9:
	.size	_ZN7rocprim17ROCPRIM_304000_NS6detail16transform_kernelINS1_24wrapped_transform_configINS0_14default_configE12hip_bfloat16EES5_PKS5_PS5_NS0_8identityIS5_EEEEvT1_mT2_T3_, .Lfunc_end9-_ZN7rocprim17ROCPRIM_304000_NS6detail16transform_kernelINS1_24wrapped_transform_configINS0_14default_configE12hip_bfloat16EES5_PKS5_PS5_NS0_8identityIS5_EEEEvT1_mT2_T3_
                                        ; -- End function
	.section	.AMDGPU.csdata,"",@progbits
; Kernel info:
; codeLenInByte = 1568
; NumSgprs: 44
; NumVgprs: 22
; NumAgprs: 0
; TotalNumVgprs: 22
; ScratchSize: 0
; MemoryBound: 0
; FloatMode: 240
; IeeeMode: 1
; LDSByteSize: 0 bytes/workgroup (compile time only)
; SGPRBlocks: 5
; VGPRBlocks: 2
; NumSGPRsForWavesPerEU: 44
; NumVGPRsForWavesPerEU: 22
; AccumOffset: 24
; Occupancy: 8
; WaveLimiterHint : 1
; COMPUTE_PGM_RSRC2:SCRATCH_EN: 0
; COMPUTE_PGM_RSRC2:USER_SGPR: 2
; COMPUTE_PGM_RSRC2:TRAP_HANDLER: 0
; COMPUTE_PGM_RSRC2:TGID_X_EN: 1
; COMPUTE_PGM_RSRC2:TGID_Y_EN: 0
; COMPUTE_PGM_RSRC2:TGID_Z_EN: 0
; COMPUTE_PGM_RSRC2:TIDIG_COMP_CNT: 0
; COMPUTE_PGM_RSRC3_GFX90A:ACCUM_OFFSET: 5
; COMPUTE_PGM_RSRC3_GFX90A:TG_SPLIT: 0
	.section	.text._ZN7rocprim17ROCPRIM_304000_NS6detail16transform_kernelINS1_24wrapped_transform_configINS0_14default_configEN2at4cuda3cub6detail10OpaqueTypeILi8EEEEESA_PKSA_PSA_NS0_8identityISA_EEEEvT1_mT2_T3_,"axG",@progbits,_ZN7rocprim17ROCPRIM_304000_NS6detail16transform_kernelINS1_24wrapped_transform_configINS0_14default_configEN2at4cuda3cub6detail10OpaqueTypeILi8EEEEESA_PKSA_PSA_NS0_8identityISA_EEEEvT1_mT2_T3_,comdat
	.protected	_ZN7rocprim17ROCPRIM_304000_NS6detail16transform_kernelINS1_24wrapped_transform_configINS0_14default_configEN2at4cuda3cub6detail10OpaqueTypeILi8EEEEESA_PKSA_PSA_NS0_8identityISA_EEEEvT1_mT2_T3_ ; -- Begin function _ZN7rocprim17ROCPRIM_304000_NS6detail16transform_kernelINS1_24wrapped_transform_configINS0_14default_configEN2at4cuda3cub6detail10OpaqueTypeILi8EEEEESA_PKSA_PSA_NS0_8identityISA_EEEEvT1_mT2_T3_
	.globl	_ZN7rocprim17ROCPRIM_304000_NS6detail16transform_kernelINS1_24wrapped_transform_configINS0_14default_configEN2at4cuda3cub6detail10OpaqueTypeILi8EEEEESA_PKSA_PSA_NS0_8identityISA_EEEEvT1_mT2_T3_
	.p2align	8
	.type	_ZN7rocprim17ROCPRIM_304000_NS6detail16transform_kernelINS1_24wrapped_transform_configINS0_14default_configEN2at4cuda3cub6detail10OpaqueTypeILi8EEEEESA_PKSA_PSA_NS0_8identityISA_EEEEvT1_mT2_T3_,@function
_ZN7rocprim17ROCPRIM_304000_NS6detail16transform_kernelINS1_24wrapped_transform_configINS0_14default_configEN2at4cuda3cub6detail10OpaqueTypeILi8EEEEESA_PKSA_PSA_NS0_8identityISA_EEEEvT1_mT2_T3_: ; @_ZN7rocprim17ROCPRIM_304000_NS6detail16transform_kernelINS1_24wrapped_transform_configINS0_14default_configEN2at4cuda3cub6detail10OpaqueTypeILi8EEEEESA_PKSA_PSA_NS0_8identityISA_EEEEvT1_mT2_T3_
; %bb.0:
	s_load_dword s3, s[0:1], 0x20
	s_load_dwordx4 s[4:7], s[0:1], 0x0
	s_load_dwordx2 s[8:9], s[0:1], 0x10
	s_lshl_b32 s10, s2, 9
	s_mov_b32 s11, 0
	s_waitcnt lgkmcnt(0)
	s_add_i32 s3, s3, -1
	s_lshl_b64 s[0:1], s[10:11], 3
	s_add_u32 s4, s4, s0
	s_addc_u32 s5, s5, s1
	v_mov_b32_e32 v3, 0
	v_lshlrev_b32_e32 v2, 3, v0
	s_cmp_lg_u32 s2, s3
	v_lshl_add_u64 v[6:7], s[4:5], 0, v[2:3]
	s_cbranch_scc0 .LBB10_2
; %bb.1:
	global_load_dwordx2 v[8:9], v[6:7], off
	global_load_dwordx2 v[4:5], v[6:7], off offset:2048
	s_add_u32 s2, s8, s0
	s_addc_u32 s3, s9, s1
	s_waitcnt vmcnt(1)
	global_store_dwordx2 v2, v[8:9], s[2:3]
	s_mov_b64 s[2:3], -1
	s_cbranch_execz .LBB10_3
	s_branch .LBB10_10
.LBB10_2:
	s_mov_b64 s[2:3], 0
                                        ; implicit-def: $vgpr4_vgpr5
.LBB10_3:
	s_sub_i32 s4, s6, s10
	v_cmp_gt_u32_e32 vcc, s4, v0
                                        ; implicit-def: $vgpr8_vgpr9
	s_and_saveexec_b64 s[2:3], vcc
	s_cbranch_execz .LBB10_5
; %bb.4:
	global_load_dwordx2 v[8:9], v[6:7], off
.LBB10_5:
	s_or_b64 exec, exec, s[2:3]
	v_or_b32_e32 v0, 0x100, v0
	v_cmp_gt_u32_e64 s[2:3], s4, v0
                                        ; implicit-def: $vgpr4_vgpr5
	s_and_saveexec_b64 s[4:5], s[2:3]
	s_cbranch_execz .LBB10_7
; %bb.6:
	global_load_dwordx2 v[4:5], v[6:7], off offset:2048
.LBB10_7:
	s_or_b64 exec, exec, s[4:5]
	s_and_saveexec_b64 s[4:5], vcc
	s_xor_b64 s[4:5], exec, s[4:5]
	s_cbranch_execz .LBB10_9
; %bb.8:
	s_add_u32 s6, s8, s0
	s_addc_u32 s7, s9, s1
	s_waitcnt vmcnt(0)
	global_store_dwordx2 v2, v[8:9], s[6:7]
.LBB10_9:
	s_or_b64 exec, exec, s[4:5]
.LBB10_10:
	s_and_saveexec_b64 s[4:5], s[2:3]
	s_cbranch_execnz .LBB10_12
; %bb.11:
	s_endpgm
.LBB10_12:
	s_add_u32 s0, s8, s0
	s_addc_u32 s1, s9, s1
	s_waitcnt vmcnt(0)
	global_store_dwordx2 v2, v[4:5], s[0:1] offset:2048
	s_endpgm
	.section	.rodata,"a",@progbits
	.p2align	6, 0x0
	.amdhsa_kernel _ZN7rocprim17ROCPRIM_304000_NS6detail16transform_kernelINS1_24wrapped_transform_configINS0_14default_configEN2at4cuda3cub6detail10OpaqueTypeILi8EEEEESA_PKSA_PSA_NS0_8identityISA_EEEEvT1_mT2_T3_
		.amdhsa_group_segment_fixed_size 0
		.amdhsa_private_segment_fixed_size 0
		.amdhsa_kernarg_size 288
		.amdhsa_user_sgpr_count 2
		.amdhsa_user_sgpr_dispatch_ptr 0
		.amdhsa_user_sgpr_queue_ptr 0
		.amdhsa_user_sgpr_kernarg_segment_ptr 1
		.amdhsa_user_sgpr_dispatch_id 0
		.amdhsa_user_sgpr_kernarg_preload_length 0
		.amdhsa_user_sgpr_kernarg_preload_offset 0
		.amdhsa_user_sgpr_private_segment_size 0
		.amdhsa_uses_dynamic_stack 0
		.amdhsa_enable_private_segment 0
		.amdhsa_system_sgpr_workgroup_id_x 1
		.amdhsa_system_sgpr_workgroup_id_y 0
		.amdhsa_system_sgpr_workgroup_id_z 0
		.amdhsa_system_sgpr_workgroup_info 0
		.amdhsa_system_vgpr_workitem_id 0
		.amdhsa_next_free_vgpr 10
		.amdhsa_next_free_sgpr 12
		.amdhsa_accum_offset 12
		.amdhsa_reserve_vcc 1
		.amdhsa_float_round_mode_32 0
		.amdhsa_float_round_mode_16_64 0
		.amdhsa_float_denorm_mode_32 3
		.amdhsa_float_denorm_mode_16_64 3
		.amdhsa_dx10_clamp 1
		.amdhsa_ieee_mode 1
		.amdhsa_fp16_overflow 0
		.amdhsa_tg_split 0
		.amdhsa_exception_fp_ieee_invalid_op 0
		.amdhsa_exception_fp_denorm_src 0
		.amdhsa_exception_fp_ieee_div_zero 0
		.amdhsa_exception_fp_ieee_overflow 0
		.amdhsa_exception_fp_ieee_underflow 0
		.amdhsa_exception_fp_ieee_inexact 0
		.amdhsa_exception_int_div_zero 0
	.end_amdhsa_kernel
	.section	.text._ZN7rocprim17ROCPRIM_304000_NS6detail16transform_kernelINS1_24wrapped_transform_configINS0_14default_configEN2at4cuda3cub6detail10OpaqueTypeILi8EEEEESA_PKSA_PSA_NS0_8identityISA_EEEEvT1_mT2_T3_,"axG",@progbits,_ZN7rocprim17ROCPRIM_304000_NS6detail16transform_kernelINS1_24wrapped_transform_configINS0_14default_configEN2at4cuda3cub6detail10OpaqueTypeILi8EEEEESA_PKSA_PSA_NS0_8identityISA_EEEEvT1_mT2_T3_,comdat
.Lfunc_end10:
	.size	_ZN7rocprim17ROCPRIM_304000_NS6detail16transform_kernelINS1_24wrapped_transform_configINS0_14default_configEN2at4cuda3cub6detail10OpaqueTypeILi8EEEEESA_PKSA_PSA_NS0_8identityISA_EEEEvT1_mT2_T3_, .Lfunc_end10-_ZN7rocprim17ROCPRIM_304000_NS6detail16transform_kernelINS1_24wrapped_transform_configINS0_14default_configEN2at4cuda3cub6detail10OpaqueTypeILi8EEEEESA_PKSA_PSA_NS0_8identityISA_EEEEvT1_mT2_T3_
                                        ; -- End function
	.section	.AMDGPU.csdata,"",@progbits
; Kernel info:
; codeLenInByte = 264
; NumSgprs: 18
; NumVgprs: 10
; NumAgprs: 0
; TotalNumVgprs: 10
; ScratchSize: 0
; MemoryBound: 0
; FloatMode: 240
; IeeeMode: 1
; LDSByteSize: 0 bytes/workgroup (compile time only)
; SGPRBlocks: 2
; VGPRBlocks: 1
; NumSGPRsForWavesPerEU: 18
; NumVGPRsForWavesPerEU: 10
; AccumOffset: 12
; Occupancy: 8
; WaveLimiterHint : 1
; COMPUTE_PGM_RSRC2:SCRATCH_EN: 0
; COMPUTE_PGM_RSRC2:USER_SGPR: 2
; COMPUTE_PGM_RSRC2:TRAP_HANDLER: 0
; COMPUTE_PGM_RSRC2:TGID_X_EN: 1
; COMPUTE_PGM_RSRC2:TGID_Y_EN: 0
; COMPUTE_PGM_RSRC2:TGID_Z_EN: 0
; COMPUTE_PGM_RSRC2:TIDIG_COMP_CNT: 0
; COMPUTE_PGM_RSRC3_GFX90A:ACCUM_OFFSET: 2
; COMPUTE_PGM_RSRC3_GFX90A:TG_SPLIT: 0
	.section	.text._ZN7rocprim17ROCPRIM_304000_NS6detail25onesweep_iteration_kernelINS1_34wrapped_radix_sort_onesweep_configINS0_14default_configE12hip_bfloat16N2at4cuda3cub6detail10OpaqueTypeILi8EEEEELb1EPKS5_PS5_PKSB_PSB_mNS0_19identity_decomposerEEEvT1_T2_T3_T4_jPT5_SP_PNS1_23onesweep_lookback_stateET6_jjj,"axG",@progbits,_ZN7rocprim17ROCPRIM_304000_NS6detail25onesweep_iteration_kernelINS1_34wrapped_radix_sort_onesweep_configINS0_14default_configE12hip_bfloat16N2at4cuda3cub6detail10OpaqueTypeILi8EEEEELb1EPKS5_PS5_PKSB_PSB_mNS0_19identity_decomposerEEEvT1_T2_T3_T4_jPT5_SP_PNS1_23onesweep_lookback_stateET6_jjj,comdat
	.protected	_ZN7rocprim17ROCPRIM_304000_NS6detail25onesweep_iteration_kernelINS1_34wrapped_radix_sort_onesweep_configINS0_14default_configE12hip_bfloat16N2at4cuda3cub6detail10OpaqueTypeILi8EEEEELb1EPKS5_PS5_PKSB_PSB_mNS0_19identity_decomposerEEEvT1_T2_T3_T4_jPT5_SP_PNS1_23onesweep_lookback_stateET6_jjj ; -- Begin function _ZN7rocprim17ROCPRIM_304000_NS6detail25onesweep_iteration_kernelINS1_34wrapped_radix_sort_onesweep_configINS0_14default_configE12hip_bfloat16N2at4cuda3cub6detail10OpaqueTypeILi8EEEEELb1EPKS5_PS5_PKSB_PSB_mNS0_19identity_decomposerEEEvT1_T2_T3_T4_jPT5_SP_PNS1_23onesweep_lookback_stateET6_jjj
	.globl	_ZN7rocprim17ROCPRIM_304000_NS6detail25onesweep_iteration_kernelINS1_34wrapped_radix_sort_onesweep_configINS0_14default_configE12hip_bfloat16N2at4cuda3cub6detail10OpaqueTypeILi8EEEEELb1EPKS5_PS5_PKSB_PSB_mNS0_19identity_decomposerEEEvT1_T2_T3_T4_jPT5_SP_PNS1_23onesweep_lookback_stateET6_jjj
	.p2align	8
	.type	_ZN7rocprim17ROCPRIM_304000_NS6detail25onesweep_iteration_kernelINS1_34wrapped_radix_sort_onesweep_configINS0_14default_configE12hip_bfloat16N2at4cuda3cub6detail10OpaqueTypeILi8EEEEELb1EPKS5_PS5_PKSB_PSB_mNS0_19identity_decomposerEEEvT1_T2_T3_T4_jPT5_SP_PNS1_23onesweep_lookback_stateET6_jjj,@function
_ZN7rocprim17ROCPRIM_304000_NS6detail25onesweep_iteration_kernelINS1_34wrapped_radix_sort_onesweep_configINS0_14default_configE12hip_bfloat16N2at4cuda3cub6detail10OpaqueTypeILi8EEEEELb1EPKS5_PS5_PKSB_PSB_mNS0_19identity_decomposerEEEvT1_T2_T3_T4_jPT5_SP_PNS1_23onesweep_lookback_stateET6_jjj: ; @_ZN7rocprim17ROCPRIM_304000_NS6detail25onesweep_iteration_kernelINS1_34wrapped_radix_sort_onesweep_configINS0_14default_configE12hip_bfloat16N2at4cuda3cub6detail10OpaqueTypeILi8EEEEELb1EPKS5_PS5_PKSB_PSB_mNS0_19identity_decomposerEEEvT1_T2_T3_T4_jPT5_SP_PNS1_23onesweep_lookback_stateET6_jjj
; %bb.0:
	s_load_dwordx4 s[48:51], s[0:1], 0x44
	s_load_dwordx8 s[36:43], s[0:1], 0x0
	s_load_dwordx4 s[44:47], s[0:1], 0x28
	s_load_dwordx2 s[34:35], s[0:1], 0x38
	s_mul_i32 s30, s2, 0x1800
	s_waitcnt lgkmcnt(0)
	s_cmp_ge_u32 s2, s50
	v_mbcnt_lo_u32_b32 v1, -1, 0
	s_cbranch_scc0 .LBB11_86
; %bb.1:
	s_load_dword s3, s[0:1], 0x20
	s_mulk_i32 s50, 0xe800
	s_mov_b32 s31, 0
	v_and_b32_e32 v2, 0x3ff, v0
	s_lshl_b64 s[4:5], s[30:31], 1
	s_waitcnt lgkmcnt(0)
	s_add_i32 s50, s50, s3
	s_add_u32 s4, s36, s4
	v_mbcnt_hi_u32_b32 v14, -1, v1
	v_and_b32_e32 v3, 0x3c0, v2
	s_addc_u32 s5, s37, s5
	v_mul_u32_u24_e32 v3, 6, v3
	v_mov_b32_e32 v5, 0
	v_lshlrev_b32_e32 v4, 1, v14
	v_lshl_add_u64 v[6:7], s[4:5], 0, v[4:5]
	v_lshlrev_b32_e32 v4, 1, v3
	v_lshl_add_u64 v[4:5], v[6:7], 0, v[4:5]
	v_or_b32_e32 v7, v14, v3
	v_cmp_gt_u32_e32 vcc, s50, v7
	v_mov_b32_e32 v11, -1
	v_mov_b32_e32 v6, -1
	s_and_saveexec_b64 s[4:5], vcc
	s_cbranch_execz .LBB11_3
; %bb.2:
	global_load_ushort v6, v[4:5], off
.LBB11_3:
	s_or_b64 exec, exec, s[4:5]
	v_add_u32_e32 v8, 64, v7
	v_cmp_gt_u32_e64 s[26:27], s50, v8
	s_and_saveexec_b64 s[4:5], s[26:27]
	s_cbranch_execz .LBB11_5
; %bb.4:
	global_load_ushort v11, v[4:5], off offset:128
.LBB11_5:
	s_or_b64 exec, exec, s[4:5]
	v_add_u32_e32 v8, 0x80, v7
	v_cmp_gt_u32_e64 s[4:5], s50, v8
	v_mov_b32_e32 v23, -1
	v_mov_b32_e32 v18, -1
	s_and_saveexec_b64 s[6:7], s[4:5]
	s_cbranch_execz .LBB11_7
; %bb.6:
	global_load_ushort v18, v[4:5], off offset:256
.LBB11_7:
	s_or_b64 exec, exec, s[6:7]
	v_add_u32_e32 v8, 0xc0, v7
	v_cmp_gt_u32_e64 s[6:7], s50, v8
	s_and_saveexec_b64 s[8:9], s[6:7]
	s_cbranch_execz .LBB11_9
; %bb.8:
	global_load_ushort v23, v[4:5], off offset:384
.LBB11_9:
	s_or_b64 exec, exec, s[8:9]
	v_add_u32_e32 v8, 0x100, v7
	v_cmp_gt_u32_e64 s[8:9], s50, v8
	v_mov_b32_e32 v15, -1
	v_mov_b32_e32 v20, -1
	s_and_saveexec_b64 s[10:11], s[8:9]
	s_cbranch_execz .LBB11_11
; %bb.10:
	global_load_ushort v20, v[4:5], off offset:512
.LBB11_11:
	s_or_b64 exec, exec, s[10:11]
	v_add_u32_e32 v7, 0x140, v7
	v_cmp_gt_u32_e64 s[10:11], s50, v7
	s_and_saveexec_b64 s[12:13], s[10:11]
	s_cbranch_execz .LBB11_13
; %bb.12:
	global_load_ushort v15, v[4:5], off offset:640
.LBB11_13:
	s_or_b64 exec, exec, s[12:13]
	s_load_dword s12, s[0:1], 0x5c
	s_load_dword s3, s[0:1], 0x50
	s_add_u32 s13, s0, 0x50
	s_addc_u32 s14, s1, 0
	v_mov_b32_e32 v5, 0
	s_waitcnt lgkmcnt(0)
	s_lshr_b32 s15, s12, 16
	s_cmp_lt_u32 s2, s3
	s_cselect_b32 s12, 12, 18
	s_add_u32 s12, s13, s12
	s_addc_u32 s13, s14, 0
	global_load_ushort v10, v5, s[12:13]
	v_mov_b32_e32 v12, 0x7fff
	s_waitcnt vmcnt(1)
	v_cmp_gt_i16_e64 s[12:13], 0, v6
	s_movk_i32 s28, 0x8000
	v_bfe_u32 v4, v0, 10, 10
	v_cndmask_b32_e64 v9, v12, 0, s[12:13]
	v_xor_b32_e32 v9, v9, v6
	v_cmp_ne_u16_e64 s[12:13], s28, v9
	v_bfe_u32 v7, v0, 20, 10
	v_mad_u32_u24 v13, v7, s15, v4
	v_cndmask_b32_e64 v6, v12, v9, s[12:13]
	s_lshl_b32 s12, -1, s49
	v_lshrrev_b32_sdwa v6, s48, v6 dst_sel:DWORD dst_unused:UNUSED_PAD src0_sel:DWORD src1_sel:WORD_0
	s_not_b32 s33, s12
	v_and_b32_e32 v19, s33, v6
	v_and_b32_e32 v4, 1, v19
	v_lshlrev_b32_e32 v17, 30, v19
	v_mov_b32_e32 v16, v5
	v_lshlrev_b32_e32 v25, 29, v19
	v_lshl_add_u64 v[6:7], v[4:5], 0, -1
	v_cmp_ne_u32_e64 s[12:13], 0, v4
	v_not_b32_e32 v4, v17
	v_mov_b32_e32 v24, v5
	v_lshlrev_b32_e32 v27, 28, v19
	v_cmp_gt_i64_e64 s[14:15], 0, v[16:17]
	v_not_b32_e32 v16, v25
	v_xor_b32_e32 v7, s13, v7
	v_ashrrev_i32_e32 v4, 31, v4
	v_mov_b32_e32 v26, v5
	v_lshlrev_b32_e32 v29, 27, v19
	v_cmp_gt_i64_e64 s[16:17], 0, v[24:25]
	v_not_b32_e32 v17, v27
	v_xor_b32_e32 v6, s12, v6
	v_ashrrev_i32_e32 v16, 31, v16
	v_and_b32_e32 v7, exec_hi, v7
	v_xor_b32_e32 v25, s15, v4
	v_mov_b32_e32 v28, v5
	v_lshlrev_b32_e32 v31, 26, v19
	v_cmp_gt_i64_e64 s[18:19], 0, v[26:27]
	v_not_b32_e32 v22, v29
	v_ashrrev_i32_e32 v17, 31, v17
	v_and_b32_e32 v6, exec_lo, v6
	v_xor_b32_e32 v4, s14, v4
	v_xor_b32_e32 v26, s17, v16
	v_and_b32_e32 v7, v7, v25
	v_mov_b32_e32 v30, v5
	v_cmp_gt_i64_e64 s[20:21], 0, v[28:29]
	v_not_b32_e32 v24, v31
	v_ashrrev_i32_e32 v22, 31, v22
	v_xor_b32_e32 v16, s16, v16
	v_xor_b32_e32 v27, s19, v17
	v_and_b32_e32 v4, v6, v4
	v_and_b32_e32 v6, v7, v26
	v_cmp_gt_i64_e64 s[22:23], 0, v[30:31]
	v_ashrrev_i32_e32 v24, 31, v24
	v_xor_b32_e32 v17, s18, v17
	v_xor_b32_e32 v28, s21, v22
	v_and_b32_e32 v4, v4, v16
	v_and_b32_e32 v6, v6, v27
	v_xor_b32_e32 v22, s20, v22
	v_xor_b32_e32 v29, s23, v24
	v_and_b32_e32 v4, v4, v17
	v_and_b32_e32 v6, v6, v28
	v_lshlrev_b32_e32 v33, 25, v19
	v_xor_b32_e32 v24, s22, v24
	v_and_b32_e32 v4, v4, v22
	v_and_b32_e32 v16, v6, v29
	v_mov_b32_e32 v32, v5
	v_and_b32_e32 v4, v4, v24
	v_cmp_gt_i64_e64 s[24:25], 0, v[32:33]
	v_mul_u32_u24_e32 v8, 5, v2
	v_mul_u32_u24_e32 v21, 17, v19
	v_lshlrev_b32_e32 v8, 2, v8
	ds_write2_b32 v8, v5, v5 offset0:16 offset1:17
	ds_write2_b32 v8, v5, v5 offset0:18 offset1:19
	ds_write_b32 v8, v5 offset:80
	s_waitcnt lgkmcnt(0)
	s_barrier
	s_waitcnt lgkmcnt(0)
	; wave barrier
	s_waitcnt vmcnt(0)
	v_mad_u64_u32 v[6:7], s[12:13], v13, v10, v[2:3]
	v_lshrrev_b32_e32 v24, 6, v6
	v_not_b32_e32 v6, v33
	v_ashrrev_i32_e32 v6, 31, v6
	v_xor_b32_e32 v7, s25, v6
	v_xor_b32_e32 v6, s24, v6
	v_and_b32_e32 v10, v16, v7
	v_and_b32_e32 v4, v4, v6
	v_lshlrev_b32_e32 v7, 24, v19
	v_mov_b32_e32 v6, v5
	v_cmp_gt_i64_e64 s[12:13], 0, v[6:7]
	v_not_b32_e32 v6, v7
	v_ashrrev_i32_e32 v6, 31, v6
	v_xor_b32_e32 v7, s13, v6
	v_xor_b32_e32 v6, s12, v6
	v_and_b32_e32 v6, v4, v6
	v_and_b32_e32 v7, v10, v7
	v_mbcnt_lo_u32_b32 v4, v6, 0
	v_mbcnt_hi_u32_b32 v10, v7, v4
	v_cmp_eq_u32_e64 s[12:13], 0, v10
	v_cmp_ne_u64_e64 s[14:15], 0, v[6:7]
	v_add_lshl_u32 v13, v24, v21, 2
	s_and_b64 s[14:15], s[14:15], s[12:13]
	s_and_saveexec_b64 s[12:13], s[14:15]
	s_cbranch_execz .LBB11_15
; %bb.14:
	v_bcnt_u32_b32 v4, v6, 0
	v_bcnt_u32_b32 v4, v7, v4
	ds_write_b32 v13, v4 offset:64
.LBB11_15:
	s_or_b64 exec, exec, s[12:13]
	v_cmp_gt_i16_e64 s[12:13], 0, v11
	; wave barrier
	s_nop 1
	v_cndmask_b32_e64 v4, v12, 0, s[12:13]
	v_xor_b32_e32 v11, v4, v11
	v_cmp_ne_u16_e64 s[12:13], s28, v11
	s_nop 1
	v_cndmask_b32_e64 v4, v12, v11, s[12:13]
	v_lshrrev_b32_sdwa v4, s48, v4 dst_sel:DWORD dst_unused:UNUSED_PAD src0_sel:DWORD src1_sel:WORD_0
	v_and_b32_e32 v17, s33, v4
	v_mul_u32_u24_e32 v4, 17, v17
	v_add_lshl_u32 v16, v24, v4, 2
	v_and_b32_e32 v4, 1, v17
	v_lshl_add_u64 v[6:7], v[4:5], 0, -1
	v_cmp_ne_u32_e64 s[12:13], 0, v4
	ds_read_b32 v12, v16 offset:64
	s_nop 0
	v_xor_b32_e32 v6, s12, v6
	v_xor_b32_e32 v4, s13, v7
	v_and_b32_e32 v19, exec_lo, v6
	v_lshlrev_b32_e32 v7, 30, v17
	v_mov_b32_e32 v6, v5
	v_cmp_gt_i64_e64 s[12:13], 0, v[6:7]
	v_not_b32_e32 v6, v7
	v_ashrrev_i32_e32 v6, 31, v6
	v_and_b32_e32 v4, exec_hi, v4
	v_xor_b32_e32 v7, s13, v6
	v_xor_b32_e32 v6, s12, v6
	v_and_b32_e32 v4, v4, v7
	v_and_b32_e32 v19, v19, v6
	v_lshlrev_b32_e32 v7, 29, v17
	v_mov_b32_e32 v6, v5
	v_cmp_gt_i64_e64 s[12:13], 0, v[6:7]
	v_not_b32_e32 v6, v7
	v_ashrrev_i32_e32 v6, 31, v6
	v_xor_b32_e32 v7, s13, v6
	v_xor_b32_e32 v6, s12, v6
	v_and_b32_e32 v4, v4, v7
	v_and_b32_e32 v19, v19, v6
	v_lshlrev_b32_e32 v7, 28, v17
	v_mov_b32_e32 v6, v5
	v_cmp_gt_i64_e64 s[12:13], 0, v[6:7]
	v_not_b32_e32 v6, v7
	v_ashrrev_i32_e32 v6, 31, v6
	;; [unrolled: 9-line block ×5, first 2 shown]
	v_xor_b32_e32 v7, s13, v6
	v_xor_b32_e32 v6, s12, v6
	v_and_b32_e32 v4, v4, v7
	v_lshlrev_b32_e32 v7, 24, v17
	v_and_b32_e32 v19, v19, v6
	v_mov_b32_e32 v6, v5
	v_not_b32_e32 v5, v7
	v_cmp_gt_i64_e64 s[12:13], 0, v[6:7]
	v_ashrrev_i32_e32 v5, 31, v5
	; wave barrier
	s_nop 0
	v_xor_b32_e32 v6, s13, v5
	v_xor_b32_e32 v7, s12, v5
	v_and_b32_e32 v5, v4, v6
	v_and_b32_e32 v4, v19, v7
	v_mbcnt_lo_u32_b32 v6, v4, 0
	v_mbcnt_hi_u32_b32 v17, v5, v6
	v_cmp_eq_u32_e64 s[12:13], 0, v17
	v_cmp_ne_u64_e64 s[14:15], 0, v[4:5]
	s_and_b64 s[14:15], s[14:15], s[12:13]
	s_and_saveexec_b64 s[12:13], s[14:15]
	s_cbranch_execz .LBB11_17
; %bb.16:
	v_bcnt_u32_b32 v4, v4, 0
	v_bcnt_u32_b32 v4, v5, v4
	s_waitcnt lgkmcnt(0)
	v_add_u32_e32 v4, v12, v4
	ds_write_b32 v16, v4 offset:64
.LBB11_17:
	s_or_b64 exec, exec, s[12:13]
	v_mov_b32_e32 v25, 0x7fff
	v_cmp_gt_i16_e64 s[12:13], 0, v18
	s_movk_i32 s16, 0x8000
	v_mov_b32_e32 v5, 0
	v_cndmask_b32_e64 v4, v25, 0, s[12:13]
	v_xor_b32_e32 v18, v4, v18
	v_cmp_ne_u16_e64 s[12:13], s16, v18
	; wave barrier
	s_nop 1
	v_cndmask_b32_e64 v4, v25, v18, s[12:13]
	v_lshrrev_b32_sdwa v4, s48, v4 dst_sel:DWORD dst_unused:UNUSED_PAD src0_sel:DWORD src1_sel:WORD_0
	v_and_b32_e32 v22, s33, v4
	v_mul_u32_u24_e32 v4, 17, v22
	v_add_lshl_u32 v21, v24, v4, 2
	v_and_b32_e32 v4, 1, v22
	v_lshl_add_u64 v[6:7], v[4:5], 0, -1
	v_cmp_ne_u32_e64 s[12:13], 0, v4
	ds_read_b32 v19, v21 offset:64
	s_nop 0
	v_xor_b32_e32 v6, s12, v6
	v_xor_b32_e32 v4, s13, v7
	v_and_b32_e32 v26, exec_lo, v6
	v_lshlrev_b32_e32 v7, 30, v22
	v_mov_b32_e32 v6, v5
	v_cmp_gt_i64_e64 s[12:13], 0, v[6:7]
	v_not_b32_e32 v6, v7
	v_ashrrev_i32_e32 v6, 31, v6
	v_and_b32_e32 v4, exec_hi, v4
	v_xor_b32_e32 v7, s13, v6
	v_xor_b32_e32 v6, s12, v6
	v_and_b32_e32 v4, v4, v7
	v_and_b32_e32 v26, v26, v6
	v_lshlrev_b32_e32 v7, 29, v22
	v_mov_b32_e32 v6, v5
	v_cmp_gt_i64_e64 s[12:13], 0, v[6:7]
	v_not_b32_e32 v6, v7
	v_ashrrev_i32_e32 v6, 31, v6
	v_xor_b32_e32 v7, s13, v6
	v_xor_b32_e32 v6, s12, v6
	v_and_b32_e32 v4, v4, v7
	v_and_b32_e32 v26, v26, v6
	v_lshlrev_b32_e32 v7, 28, v22
	v_mov_b32_e32 v6, v5
	v_cmp_gt_i64_e64 s[12:13], 0, v[6:7]
	v_not_b32_e32 v6, v7
	v_ashrrev_i32_e32 v6, 31, v6
	;; [unrolled: 9-line block ×6, first 2 shown]
	v_xor_b32_e32 v7, s13, v6
	v_xor_b32_e32 v6, s12, v6
	v_and_b32_e32 v6, v26, v6
	v_and_b32_e32 v7, v4, v7
	v_mbcnt_lo_u32_b32 v4, v6, 0
	v_mbcnt_hi_u32_b32 v22, v7, v4
	v_cmp_eq_u32_e64 s[12:13], 0, v22
	v_cmp_ne_u64_e64 s[14:15], 0, v[6:7]
	s_and_b64 s[14:15], s[14:15], s[12:13]
	; wave barrier
	s_and_saveexec_b64 s[12:13], s[14:15]
	s_cbranch_execz .LBB11_19
; %bb.18:
	v_bcnt_u32_b32 v4, v6, 0
	v_bcnt_u32_b32 v4, v7, v4
	s_waitcnt lgkmcnt(0)
	v_add_u32_e32 v4, v19, v4
	ds_write_b32 v21, v4 offset:64
.LBB11_19:
	s_or_b64 exec, exec, s[12:13]
	v_cmp_gt_i16_e64 s[12:13], 0, v23
	; wave barrier
	s_nop 1
	v_cndmask_b32_e64 v4, v25, 0, s[12:13]
	v_xor_b32_e32 v23, v4, v23
	v_cmp_ne_u16_e64 s[12:13], s16, v23
	s_nop 1
	v_cndmask_b32_e64 v4, v25, v23, s[12:13]
	v_lshrrev_b32_sdwa v4, s48, v4 dst_sel:DWORD dst_unused:UNUSED_PAD src0_sel:DWORD src1_sel:WORD_0
	v_and_b32_e32 v27, s33, v4
	v_mul_u32_u24_e32 v4, 17, v27
	v_add_lshl_u32 v26, v24, v4, 2
	v_and_b32_e32 v4, 1, v27
	v_lshl_add_u64 v[6:7], v[4:5], 0, -1
	v_cmp_ne_u32_e64 s[12:13], 0, v4
	ds_read_b32 v25, v26 offset:64
	s_nop 0
	v_xor_b32_e32 v6, s12, v6
	v_xor_b32_e32 v4, s13, v7
	v_and_b32_e32 v28, exec_lo, v6
	v_lshlrev_b32_e32 v7, 30, v27
	v_mov_b32_e32 v6, v5
	v_cmp_gt_i64_e64 s[12:13], 0, v[6:7]
	v_not_b32_e32 v6, v7
	v_ashrrev_i32_e32 v6, 31, v6
	v_and_b32_e32 v4, exec_hi, v4
	v_xor_b32_e32 v7, s13, v6
	v_xor_b32_e32 v6, s12, v6
	v_and_b32_e32 v4, v4, v7
	v_and_b32_e32 v28, v28, v6
	v_lshlrev_b32_e32 v7, 29, v27
	v_mov_b32_e32 v6, v5
	v_cmp_gt_i64_e64 s[12:13], 0, v[6:7]
	v_not_b32_e32 v6, v7
	v_ashrrev_i32_e32 v6, 31, v6
	v_xor_b32_e32 v7, s13, v6
	v_xor_b32_e32 v6, s12, v6
	v_and_b32_e32 v4, v4, v7
	v_and_b32_e32 v28, v28, v6
	v_lshlrev_b32_e32 v7, 28, v27
	v_mov_b32_e32 v6, v5
	v_cmp_gt_i64_e64 s[12:13], 0, v[6:7]
	v_not_b32_e32 v6, v7
	v_ashrrev_i32_e32 v6, 31, v6
	;; [unrolled: 9-line block ×5, first 2 shown]
	v_xor_b32_e32 v7, s13, v6
	v_xor_b32_e32 v6, s12, v6
	v_and_b32_e32 v4, v4, v7
	v_lshlrev_b32_e32 v7, 24, v27
	v_and_b32_e32 v28, v28, v6
	v_mov_b32_e32 v6, v5
	v_not_b32_e32 v5, v7
	v_cmp_gt_i64_e64 s[12:13], 0, v[6:7]
	v_ashrrev_i32_e32 v5, 31, v5
	; wave barrier
	s_nop 0
	v_xor_b32_e32 v6, s13, v5
	v_xor_b32_e32 v7, s12, v5
	v_and_b32_e32 v5, v4, v6
	v_and_b32_e32 v4, v28, v7
	v_mbcnt_lo_u32_b32 v6, v4, 0
	v_mbcnt_hi_u32_b32 v29, v5, v6
	v_cmp_eq_u32_e64 s[12:13], 0, v29
	v_cmp_ne_u64_e64 s[14:15], 0, v[4:5]
	s_and_b64 s[14:15], s[14:15], s[12:13]
	s_and_saveexec_b64 s[12:13], s[14:15]
	s_cbranch_execz .LBB11_21
; %bb.20:
	v_bcnt_u32_b32 v4, v4, 0
	v_bcnt_u32_b32 v4, v5, v4
	s_waitcnt lgkmcnt(0)
	v_add_u32_e32 v4, v25, v4
	ds_write_b32 v26, v4 offset:64
.LBB11_21:
	s_or_b64 exec, exec, s[12:13]
	v_mov_b32_e32 v32, 0x7fff
	v_cmp_gt_i16_e64 s[12:13], 0, v20
	v_mov_b32_e32 v5, 0
	s_nop 0
	v_cndmask_b32_e64 v4, v32, 0, s[12:13]
	v_xor_b32_e32 v20, v4, v20
	v_cmp_ne_u16_e64 s[12:13], s16, v20
	; wave barrier
	s_nop 1
	v_cndmask_b32_e64 v4, v32, v20, s[12:13]
	v_lshrrev_b32_sdwa v4, s48, v4 dst_sel:DWORD dst_unused:UNUSED_PAD src0_sel:DWORD src1_sel:WORD_0
	v_and_b32_e32 v28, s33, v4
	v_mul_u32_u24_e32 v4, 17, v28
	v_add_lshl_u32 v27, v24, v4, 2
	v_and_b32_e32 v4, 1, v28
	v_lshl_add_u64 v[6:7], v[4:5], 0, -1
	v_cmp_ne_u32_e64 s[12:13], 0, v4
	ds_read_b32 v30, v27 offset:64
	s_nop 0
	v_xor_b32_e32 v6, s12, v6
	v_xor_b32_e32 v4, s13, v7
	v_and_b32_e32 v31, exec_lo, v6
	v_lshlrev_b32_e32 v7, 30, v28
	v_mov_b32_e32 v6, v5
	v_cmp_gt_i64_e64 s[12:13], 0, v[6:7]
	v_not_b32_e32 v6, v7
	v_ashrrev_i32_e32 v6, 31, v6
	v_and_b32_e32 v4, exec_hi, v4
	v_xor_b32_e32 v7, s13, v6
	v_xor_b32_e32 v6, s12, v6
	v_and_b32_e32 v4, v4, v7
	v_and_b32_e32 v31, v31, v6
	v_lshlrev_b32_e32 v7, 29, v28
	v_mov_b32_e32 v6, v5
	v_cmp_gt_i64_e64 s[12:13], 0, v[6:7]
	v_not_b32_e32 v6, v7
	v_ashrrev_i32_e32 v6, 31, v6
	v_xor_b32_e32 v7, s13, v6
	v_xor_b32_e32 v6, s12, v6
	v_and_b32_e32 v4, v4, v7
	v_and_b32_e32 v31, v31, v6
	v_lshlrev_b32_e32 v7, 28, v28
	v_mov_b32_e32 v6, v5
	v_cmp_gt_i64_e64 s[12:13], 0, v[6:7]
	v_not_b32_e32 v6, v7
	v_ashrrev_i32_e32 v6, 31, v6
	;; [unrolled: 9-line block ×6, first 2 shown]
	v_xor_b32_e32 v7, s13, v6
	v_xor_b32_e32 v6, s12, v6
	v_and_b32_e32 v6, v31, v6
	v_and_b32_e32 v7, v4, v7
	v_mbcnt_lo_u32_b32 v4, v6, 0
	v_mbcnt_hi_u32_b32 v31, v7, v4
	v_cmp_eq_u32_e64 s[12:13], 0, v31
	v_cmp_ne_u64_e64 s[14:15], 0, v[6:7]
	s_and_b64 s[14:15], s[14:15], s[12:13]
	; wave barrier
	s_and_saveexec_b64 s[12:13], s[14:15]
	s_cbranch_execz .LBB11_23
; %bb.22:
	v_bcnt_u32_b32 v4, v6, 0
	v_bcnt_u32_b32 v4, v7, v4
	s_waitcnt lgkmcnt(0)
	v_add_u32_e32 v4, v30, v4
	ds_write_b32 v27, v4 offset:64
.LBB11_23:
	s_or_b64 exec, exec, s[12:13]
	v_cmp_gt_i16_e64 s[12:13], 0, v15
	; wave barrier
	s_nop 1
	v_cndmask_b32_e64 v4, v32, 0, s[12:13]
	v_xor_b32_e32 v15, v4, v15
	v_cmp_ne_u16_e64 s[12:13], s16, v15
	v_add_u32_e32 v28, 64, v8
	s_nop 0
	v_cndmask_b32_e64 v4, v32, v15, s[12:13]
	v_lshrrev_b32_sdwa v4, s48, v4 dst_sel:DWORD dst_unused:UNUSED_PAD src0_sel:DWORD src1_sel:WORD_0
	v_and_b32_e32 v33, s33, v4
	v_mul_u32_u24_e32 v4, 17, v33
	v_add_lshl_u32 v24, v4, v24, 2
	v_and_b32_e32 v4, 1, v33
	v_lshl_add_u64 v[6:7], v[4:5], 0, -1
	v_cmp_ne_u32_e64 s[12:13], 0, v4
	ds_read_b32 v32, v24 offset:64
	s_nop 0
	v_xor_b32_e32 v6, s12, v6
	v_xor_b32_e32 v4, s13, v7
	v_and_b32_e32 v34, exec_lo, v6
	v_lshlrev_b32_e32 v7, 30, v33
	v_mov_b32_e32 v6, v5
	v_cmp_gt_i64_e64 s[12:13], 0, v[6:7]
	v_not_b32_e32 v6, v7
	v_ashrrev_i32_e32 v6, 31, v6
	v_and_b32_e32 v4, exec_hi, v4
	v_xor_b32_e32 v7, s13, v6
	v_xor_b32_e32 v6, s12, v6
	v_and_b32_e32 v4, v4, v7
	v_and_b32_e32 v34, v34, v6
	v_lshlrev_b32_e32 v7, 29, v33
	v_mov_b32_e32 v6, v5
	v_cmp_gt_i64_e64 s[12:13], 0, v[6:7]
	v_not_b32_e32 v6, v7
	v_ashrrev_i32_e32 v6, 31, v6
	v_xor_b32_e32 v7, s13, v6
	v_xor_b32_e32 v6, s12, v6
	v_and_b32_e32 v4, v4, v7
	v_and_b32_e32 v34, v34, v6
	v_lshlrev_b32_e32 v7, 28, v33
	v_mov_b32_e32 v6, v5
	v_cmp_gt_i64_e64 s[12:13], 0, v[6:7]
	v_not_b32_e32 v6, v7
	v_ashrrev_i32_e32 v6, 31, v6
	;; [unrolled: 9-line block ×5, first 2 shown]
	v_xor_b32_e32 v7, s13, v6
	v_xor_b32_e32 v6, s12, v6
	v_and_b32_e32 v4, v4, v7
	v_lshlrev_b32_e32 v7, 24, v33
	v_and_b32_e32 v34, v34, v6
	v_mov_b32_e32 v6, v5
	v_not_b32_e32 v5, v7
	v_cmp_gt_i64_e64 s[12:13], 0, v[6:7]
	v_ashrrev_i32_e32 v5, 31, v5
	; wave barrier
	s_nop 0
	v_xor_b32_e32 v6, s13, v5
	v_xor_b32_e32 v7, s12, v5
	v_and_b32_e32 v5, v4, v6
	v_and_b32_e32 v4, v34, v7
	v_mbcnt_lo_u32_b32 v6, v4, 0
	v_mbcnt_hi_u32_b32 v33, v5, v6
	v_cmp_eq_u32_e64 s[12:13], 0, v33
	v_cmp_ne_u64_e64 s[14:15], 0, v[4:5]
	s_and_b64 s[14:15], s[14:15], s[12:13]
	s_and_saveexec_b64 s[12:13], s[14:15]
	s_cbranch_execz .LBB11_25
; %bb.24:
	v_bcnt_u32_b32 v4, v4, 0
	v_bcnt_u32_b32 v4, v5, v4
	s_waitcnt lgkmcnt(0)
	v_add_u32_e32 v4, v32, v4
	ds_write_b32 v24, v4 offset:64
.LBB11_25:
	s_or_b64 exec, exec, s[12:13]
	; wave barrier
	s_waitcnt lgkmcnt(0)
	s_barrier
	ds_read2_b32 v[6:7], v8 offset0:16 offset1:17
	ds_read2_b32 v[4:5], v28 offset0:2 offset1:3
	ds_read_b32 v34, v28 offset:16
	v_cmp_lt_u32_e64 s[20:21], 31, v14
	s_waitcnt lgkmcnt(1)
	v_add3_u32 v35, v7, v6, v4
	s_waitcnt lgkmcnt(0)
	v_add3_u32 v34, v35, v5, v34
	v_and_b32_e32 v35, 15, v14
	v_cmp_eq_u32_e64 s[12:13], 0, v35
	v_mov_b32_dpp v36, v34 row_shr:1 row_mask:0xf bank_mask:0xf
	v_cmp_lt_u32_e64 s[14:15], 1, v35
	v_cndmask_b32_e64 v36, v36, 0, s[12:13]
	v_add_u32_e32 v34, v36, v34
	v_cmp_lt_u32_e64 s[16:17], 3, v35
	v_cmp_lt_u32_e64 s[18:19], 7, v35
	v_mov_b32_dpp v36, v34 row_shr:2 row_mask:0xf bank_mask:0xf
	v_cndmask_b32_e64 v36, 0, v36, s[14:15]
	v_add_u32_e32 v34, v34, v36
	s_nop 1
	v_mov_b32_dpp v36, v34 row_shr:4 row_mask:0xf bank_mask:0xf
	v_cndmask_b32_e64 v36, 0, v36, s[16:17]
	v_add_u32_e32 v34, v34, v36
	s_nop 1
	v_mov_b32_dpp v36, v34 row_shr:8 row_mask:0xf bank_mask:0xf
	v_cndmask_b32_e64 v35, 0, v36, s[18:19]
	v_add_u32_e32 v34, v34, v35
	v_bfe_i32 v36, v14, 4, 1
	s_nop 0
	v_mov_b32_dpp v35, v34 row_bcast:15 row_mask:0xf bank_mask:0xf
	v_and_b32_e32 v35, v36, v35
	v_add_u32_e32 v34, v34, v35
	v_and_b32_e32 v36, 63, v2
	s_nop 0
	v_mov_b32_dpp v35, v34 row_bcast:31 row_mask:0xf bank_mask:0xf
	v_cndmask_b32_e64 v35, 0, v35, s[20:21]
	v_add_u32_e32 v34, v34, v35
	v_lshrrev_b32_e32 v35, 6, v2
	v_cmp_eq_u32_e64 s[20:21], 63, v36
	s_and_saveexec_b64 s[22:23], s[20:21]
	s_cbranch_execz .LBB11_27
; %bb.26:
	v_lshlrev_b32_e32 v36, 2, v35
	ds_write_b32 v36, v34
.LBB11_27:
	s_or_b64 exec, exec, s[22:23]
	v_cmp_gt_u32_e64 s[20:21], 16, v2
	s_waitcnt lgkmcnt(0)
	s_barrier
	s_and_saveexec_b64 s[22:23], s[20:21]
	s_cbranch_execz .LBB11_29
; %bb.28:
	v_lshlrev_b32_e32 v36, 2, v2
	ds_read_b32 v37, v36
	s_waitcnt lgkmcnt(0)
	s_nop 0
	v_mov_b32_dpp v38, v37 row_shr:1 row_mask:0xf bank_mask:0xf
	v_cndmask_b32_e64 v38, v38, 0, s[12:13]
	v_add_u32_e32 v37, v38, v37
	s_nop 1
	v_mov_b32_dpp v38, v37 row_shr:2 row_mask:0xf bank_mask:0xf
	v_cndmask_b32_e64 v38, 0, v38, s[14:15]
	v_add_u32_e32 v37, v37, v38
	;; [unrolled: 4-line block ×4, first 2 shown]
	ds_write_b32 v36, v37
.LBB11_29:
	s_or_b64 exec, exec, s[22:23]
	v_cmp_lt_u32_e64 s[12:13], 63, v2
	v_mov_b32_e32 v36, 0
	s_waitcnt lgkmcnt(0)
	s_barrier
	s_and_saveexec_b64 s[14:15], s[12:13]
	s_cbranch_execz .LBB11_31
; %bb.30:
	v_lshl_add_u32 v35, v35, 2, -4
	ds_read_b32 v36, v35
.LBB11_31:
	s_or_b64 exec, exec, s[14:15]
	v_add_u32_e32 v35, -1, v14
	v_and_b32_e32 v37, 64, v14
	v_cmp_lt_i32_e64 s[12:13], v35, v37
	s_waitcnt lgkmcnt(0)
	v_add_u32_e32 v34, v36, v34
	v_cndmask_b32_e64 v35, v35, v14, s[12:13]
	v_lshlrev_b32_e32 v35, 2, v35
	ds_bpermute_b32 v34, v35, v34
	v_cmp_eq_u32_e64 s[12:13], 0, v14
	s_waitcnt lgkmcnt(0)
	s_nop 0
	v_cndmask_b32_e64 v34, v34, v36, s[12:13]
	v_cmp_ne_u32_e64 s[12:13], 0, v2
	s_nop 1
	v_cndmask_b32_e64 v34, 0, v34, s[12:13]
	v_add_u32_e32 v6, v34, v6
	v_add_u32_e32 v7, v6, v7
	;; [unrolled: 1-line block ×4, first 2 shown]
	ds_write2_b32 v8, v34, v6 offset0:16 offset1:17
	ds_write2_b32 v28, v7, v4 offset0:2 offset1:3
	ds_write_b32 v28, v5 offset:16
	s_waitcnt lgkmcnt(0)
	s_barrier
	ds_read_b32 v7, v13 offset:64
	ds_read_b32 v8, v16 offset:64
	;; [unrolled: 1-line block ×6, first 2 shown]
	s_movk_i32 s12, 0x100
	v_cmp_gt_u32_e64 s[12:13], s12, v2
	v_mov_b64_e32 v[4:5], 0
                                        ; implicit-def: $vgpr6
	s_and_saveexec_b64 s[16:17], s[12:13]
	s_cbranch_execz .LBB11_35
; %bb.32:
	v_mul_u32_u24_e32 v4, 17, v2
	v_lshlrev_b32_e32 v6, 2, v4
	ds_read_b32 v4, v6 offset:64
	s_movk_i32 s14, 0xff
	v_cmp_ne_u32_e64 s[14:15], s14, v2
	v_mov_b32_e32 v5, 0x1800
	s_and_saveexec_b64 s[18:19], s[14:15]
	s_cbranch_execz .LBB11_34
; %bb.33:
	ds_read_b32 v5, v6 offset:132
.LBB11_34:
	s_or_b64 exec, exec, s[18:19]
	s_waitcnt lgkmcnt(0)
	v_sub_u32_e32 v6, v5, v4
	v_mov_b32_e32 v5, 0
.LBB11_35:
	s_or_b64 exec, exec, s[16:17]
	s_waitcnt lgkmcnt(5)
	v_add_u32_e32 v28, v7, v10
	s_waitcnt lgkmcnt(4)
	v_add3_u32 v27, v17, v12, v8
	v_lshlrev_b32_e32 v8, 1, v28
	s_waitcnt lgkmcnt(3)
	v_add3_u32 v26, v22, v19, v13
	s_waitcnt lgkmcnt(0)
	s_barrier
	ds_write_b16 v8, v9 offset:2048
	v_lshlrev_b32_e32 v8, 1, v27
	v_add3_u32 v25, v29, v25, v16
	ds_write_b16 v8, v11 offset:2048
	v_lshlrev_b32_e32 v8, 1, v26
	v_add3_u32 v24, v31, v30, v21
	;; [unrolled: 3-line block ×3, first 2 shown]
	ds_write_b16 v8, v23 offset:2048
	v_lshlrev_b32_e32 v8, 1, v24
	ds_write_b16 v8, v20 offset:2048
	v_lshlrev_b32_e32 v8, 1, v7
	ds_write_b16 v8, v15 offset:2048
	s_waitcnt lgkmcnt(0)
	s_barrier
	s_and_saveexec_b64 s[16:17], s[12:13]
	s_cbranch_execz .LBB11_45
; %bb.36:
	v_lshl_or_b32 v10, s2, 8, v2
	v_mov_b32_e32 v11, 0
	v_lshl_add_u64 v[8:9], v[10:11], 2, s[34:35]
	v_or_b32_e32 v10, 2.0, v6
	s_mov_b64 s[18:19], 0
	s_brev_b32 s24, 1
	s_mov_b32 s25, s2
	v_mov_b32_e32 v15, 0
	global_store_dword v[8:9], v10, off sc1
                                        ; implicit-def: $sgpr14_sgpr15
	s_branch .LBB11_38
.LBB11_37:                              ;   in Loop: Header=BB11_38 Depth=1
	s_or_b64 exec, exec, s[20:21]
	v_and_b32_e32 v12, 0x3fffffff, v16
	v_add_u32_e32 v15, v12, v15
	v_cmp_eq_u32_e64 s[14:15], s24, v10
	s_and_b64 s[20:21], exec, s[14:15]
	s_or_b64 s[18:19], s[20:21], s[18:19]
	s_andn2_b64 exec, exec, s[18:19]
	s_cbranch_execz .LBB11_44
.LBB11_38:                              ; =>This Loop Header: Depth=1
                                        ;     Child Loop BB11_41 Depth 2
	s_or_b64 s[14:15], s[14:15], exec
	s_cmp_eq_u32 s25, 0
	s_cbranch_scc1 .LBB11_43
; %bb.39:                               ;   in Loop: Header=BB11_38 Depth=1
	s_add_i32 s25, s25, -1
	v_lshl_or_b32 v10, s25, 8, v2
	v_lshl_add_u64 v[12:13], v[10:11], 2, s[34:35]
	global_load_dword v16, v[12:13], off sc1
	s_waitcnt vmcnt(0)
	v_and_b32_e32 v10, -2.0, v16
	v_cmp_eq_u32_e64 s[14:15], 0, v10
	s_and_saveexec_b64 s[20:21], s[14:15]
	s_cbranch_execz .LBB11_37
; %bb.40:                               ;   in Loop: Header=BB11_38 Depth=1
	s_mov_b64 s[22:23], 0
.LBB11_41:                              ;   Parent Loop BB11_38 Depth=1
                                        ; =>  This Inner Loop Header: Depth=2
	global_load_dword v16, v[12:13], off sc1
	s_waitcnt vmcnt(0)
	v_and_b32_e32 v10, -2.0, v16
	v_cmp_ne_u32_e64 s[14:15], 0, v10
	s_or_b64 s[22:23], s[14:15], s[22:23]
	s_andn2_b64 exec, exec, s[22:23]
	s_cbranch_execnz .LBB11_41
; %bb.42:                               ;   in Loop: Header=BB11_38 Depth=1
	s_or_b64 exec, exec, s[22:23]
	s_branch .LBB11_37
.LBB11_43:                              ;   in Loop: Header=BB11_38 Depth=1
                                        ; implicit-def: $sgpr25
	s_and_b64 s[20:21], exec, s[14:15]
	s_or_b64 s[18:19], s[20:21], s[18:19]
	s_andn2_b64 exec, exec, s[18:19]
	s_cbranch_execnz .LBB11_38
.LBB11_44:
	s_or_b64 exec, exec, s[18:19]
	v_add_u32_e32 v10, v15, v6
	v_or_b32_e32 v10, 0x80000000, v10
	global_store_dword v[8:9], v10, off sc1
	v_lshlrev_b32_e32 v12, 3, v2
	global_load_dwordx2 v[8:9], v12, s[44:45]
	v_sub_co_u32_e64 v10, s[14:15], v15, v4
	s_nop 1
	v_subb_co_u32_e64 v11, s[14:15], 0, v5, s[14:15]
	s_waitcnt vmcnt(0)
	v_lshl_add_u64 v[8:9], v[10:11], 0, v[8:9]
	ds_write_b64 v12, v[8:9]
.LBB11_45:
	s_or_b64 exec, exec, s[16:17]
	v_cmp_gt_u32_e64 s[14:15], s50, v2
	v_lshlrev_b32_e32 v8, 1, v2
	s_waitcnt lgkmcnt(0)
	s_barrier
	s_and_saveexec_b64 s[18:19], s[14:15]
	s_cbranch_execz .LBB11_47
; %bb.46:
	ds_read_u16 v9, v8 offset:2048
	s_movk_i32 s16, 0x8000
	v_mov_b32_e32 v12, 0x7fff
	s_waitcnt lgkmcnt(0)
	v_cmp_ne_u16_e64 s[16:17], s16, v9
	s_nop 1
	v_cndmask_b32_e64 v10, v12, v9, s[16:17]
	v_lshrrev_b32_sdwa v10, s48, v10 dst_sel:DWORD dst_unused:UNUSED_PAD src0_sel:DWORD src1_sel:WORD_0
	v_and_b32_e32 v10, s33, v10
	v_lshlrev_b32_e32 v10, 3, v10
	ds_read_b64 v[10:11], v10
	v_cmp_gt_i16_e64 s[16:17], 0, v9
	s_waitcnt lgkmcnt(0)
	v_lshl_add_u64 v[10:11], v[10:11], 1, s[38:39]
	v_cndmask_b32_e64 v12, v12, 0, s[16:17]
	v_xor_b32_e32 v12, v12, v9
	v_mov_b32_e32 v9, 0
	v_lshl_add_u64 v[10:11], v[10:11], 0, v[8:9]
	global_store_short v[10:11], v12, off
.LBB11_47:
	s_or_b64 exec, exec, s[18:19]
	v_or_b32_e32 v29, 0x400, v2
	v_cmp_gt_u32_e64 s[16:17], s50, v29
	s_and_saveexec_b64 s[20:21], s[16:17]
	s_cbranch_execz .LBB11_49
; %bb.48:
	ds_read_u16 v9, v8 offset:4096
	s_movk_i32 s18, 0x8000
	v_mov_b32_e32 v12, 0x7fff
	s_waitcnt lgkmcnt(0)
	v_cmp_ne_u16_e64 s[18:19], s18, v9
	s_nop 1
	v_cndmask_b32_e64 v10, v12, v9, s[18:19]
	v_lshrrev_b32_sdwa v10, s48, v10 dst_sel:DWORD dst_unused:UNUSED_PAD src0_sel:DWORD src1_sel:WORD_0
	v_and_b32_e32 v10, s33, v10
	v_lshlrev_b32_e32 v10, 3, v10
	ds_read_b64 v[10:11], v10
	v_cmp_gt_i16_e64 s[18:19], 0, v9
	s_waitcnt lgkmcnt(0)
	v_lshl_add_u64 v[10:11], v[10:11], 1, s[38:39]
	v_cndmask_b32_e64 v12, v12, 0, s[18:19]
	v_xor_b32_e32 v12, v12, v9
	v_mov_b32_e32 v9, 0
	v_lshl_add_u64 v[10:11], v[10:11], 0, v[8:9]
	global_store_short v[10:11], v12, off offset:2048
.LBB11_49:
	s_or_b64 exec, exec, s[20:21]
	v_or_b32_e32 v30, 0x800, v2
	v_cmp_gt_u32_e64 s[18:19], s50, v30
	s_and_saveexec_b64 s[22:23], s[18:19]
	s_cbranch_execz .LBB11_51
; %bb.50:
	ds_read_u16 v9, v8 offset:6144
	s_movk_i32 s20, 0x8000
	v_mov_b32_e32 v13, 0x7fff
	v_lshlrev_b32_e32 v12, 1, v30
	s_waitcnt lgkmcnt(0)
	v_cmp_ne_u16_e64 s[20:21], s20, v9
	s_nop 1
	v_cndmask_b32_e64 v10, v13, v9, s[20:21]
	v_lshrrev_b32_sdwa v10, s48, v10 dst_sel:DWORD dst_unused:UNUSED_PAD src0_sel:DWORD src1_sel:WORD_0
	v_and_b32_e32 v10, s33, v10
	v_lshlrev_b32_e32 v10, 3, v10
	ds_read_b64 v[10:11], v10
	v_cmp_gt_i16_e64 s[20:21], 0, v9
	s_waitcnt lgkmcnt(0)
	v_lshl_add_u64 v[10:11], v[10:11], 1, s[38:39]
	v_cndmask_b32_e64 v13, v13, 0, s[20:21]
	v_xor_b32_e32 v9, v13, v9
	v_mov_b32_e32 v13, 0
	v_lshl_add_u64 v[10:11], v[10:11], 0, v[12:13]
	global_store_short v[10:11], v9, off
.LBB11_51:
	s_or_b64 exec, exec, s[22:23]
	v_or_b32_e32 v31, 0xc00, v2
	v_cmp_gt_u32_e64 s[20:21], s50, v31
	s_and_saveexec_b64 s[24:25], s[20:21]
	s_cbranch_execz .LBB11_53
; %bb.52:
	ds_read_u16 v9, v8 offset:8192
	s_movk_i32 s22, 0x8000
	v_mov_b32_e32 v13, 0x7fff
	v_lshlrev_b32_e32 v12, 1, v31
	s_waitcnt lgkmcnt(0)
	v_cmp_ne_u16_e64 s[22:23], s22, v9
	s_nop 1
	v_cndmask_b32_e64 v10, v13, v9, s[22:23]
	v_lshrrev_b32_sdwa v10, s48, v10 dst_sel:DWORD dst_unused:UNUSED_PAD src0_sel:DWORD src1_sel:WORD_0
	v_and_b32_e32 v10, s33, v10
	v_lshlrev_b32_e32 v10, 3, v10
	ds_read_b64 v[10:11], v10
	v_cmp_gt_i16_e64 s[22:23], 0, v9
	s_waitcnt lgkmcnt(0)
	v_lshl_add_u64 v[10:11], v[10:11], 1, s[38:39]
	v_cndmask_b32_e64 v13, v13, 0, s[22:23]
	v_xor_b32_e32 v9, v13, v9
	v_mov_b32_e32 v13, 0
	v_lshl_add_u64 v[10:11], v[10:11], 0, v[12:13]
	global_store_short v[10:11], v9, off
.LBB11_53:
	;; [unrolled: 27-line block ×4, first 2 shown]
	s_or_b64 exec, exec, s[50:51]
	s_lshl_b64 s[28:29], s[30:31], 3
	s_add_u32 s28, s40, s28
	s_addc_u32 s29, s41, s29
	v_lshlrev_b32_e32 v10, 3, v14
	v_mov_b32_e32 v11, 0
	v_lshl_add_u64 v[12:13], s[28:29], 0, v[10:11]
	v_lshlrev_b32_e32 v10, 3, v3
	v_lshl_add_u64 v[22:23], v[12:13], 0, v[10:11]
                                        ; implicit-def: $vgpr10_vgpr11
	s_and_saveexec_b64 s[28:29], vcc
	s_xor_b64 s[28:29], exec, s[28:29]
	s_cbranch_execnz .LBB11_127
; %bb.58:
	s_or_b64 exec, exec, s[28:29]
                                        ; implicit-def: $vgpr12_vgpr13
	s_and_saveexec_b64 s[28:29], s[26:27]
	s_cbranch_execnz .LBB11_128
.LBB11_59:
	s_or_b64 exec, exec, s[28:29]
                                        ; implicit-def: $vgpr14_vgpr15
	s_and_saveexec_b64 s[26:27], s[4:5]
	s_cbranch_execnz .LBB11_129
.LBB11_60:
	s_or_b64 exec, exec, s[26:27]
                                        ; implicit-def: $vgpr16_vgpr17
	s_and_saveexec_b64 s[4:5], s[6:7]
	s_cbranch_execnz .LBB11_130
.LBB11_61:
	s_or_b64 exec, exec, s[4:5]
                                        ; implicit-def: $vgpr18_vgpr19
	s_and_saveexec_b64 s[4:5], s[8:9]
	s_cbranch_execnz .LBB11_131
.LBB11_62:
	s_or_b64 exec, exec, s[4:5]
                                        ; implicit-def: $vgpr20_vgpr21
	s_and_saveexec_b64 s[4:5], s[10:11]
	s_cbranch_execz .LBB11_64
.LBB11_63:
	global_load_dwordx2 v[20:21], v[22:23], off offset:2560
.LBB11_64:
	s_or_b64 exec, exec, s[4:5]
	v_mov_b32_e32 v23, 0
	v_mov_b32_e32 v9, 0
	s_and_saveexec_b64 s[4:5], s[14:15]
	s_cbranch_execz .LBB11_66
; %bb.65:
	ds_read_u16 v3, v8 offset:2048
	s_movk_i32 s6, 0x8000
	v_mov_b32_e32 v9, 0x7fff
	s_waitcnt lgkmcnt(0)
	v_cmp_ne_u16_e32 vcc, s6, v3
	s_nop 1
	v_cndmask_b32_e32 v3, v9, v3, vcc
	v_lshrrev_b32_sdwa v3, s48, v3 dst_sel:DWORD dst_unused:UNUSED_PAD src0_sel:DWORD src1_sel:WORD_0
	v_and_b32_e32 v9, s33, v3
.LBB11_66:
	s_or_b64 exec, exec, s[4:5]
	s_and_saveexec_b64 s[4:5], s[16:17]
	s_cbranch_execz .LBB11_68
; %bb.67:
	ds_read_u16 v3, v8 offset:4096
	s_movk_i32 s6, 0x8000
	v_mov_b32_e32 v22, 0x7fff
	s_waitcnt lgkmcnt(0)
	v_cmp_ne_u16_e32 vcc, s6, v3
	s_nop 1
	v_cndmask_b32_e32 v3, v22, v3, vcc
	v_lshrrev_b32_sdwa v3, s48, v3 dst_sel:DWORD dst_unused:UNUSED_PAD src0_sel:DWORD src1_sel:WORD_0
	v_and_b32_e32 v23, s33, v3
.LBB11_68:
	s_or_b64 exec, exec, s[4:5]
	v_mov_b32_e32 v22, 0
	v_mov_b32_e32 v35, 0
	s_and_saveexec_b64 s[4:5], s[18:19]
	s_cbranch_execz .LBB11_70
; %bb.69:
	ds_read_u16 v3, v8 offset:6144
	s_movk_i32 s6, 0x8000
	v_mov_b32_e32 v34, 0x7fff
	s_waitcnt lgkmcnt(0)
	v_cmp_ne_u16_e32 vcc, s6, v3
	s_nop 1
	v_cndmask_b32_e32 v3, v34, v3, vcc
	v_lshrrev_b32_sdwa v3, s48, v3 dst_sel:DWORD dst_unused:UNUSED_PAD src0_sel:DWORD src1_sel:WORD_0
	v_and_b32_e32 v35, s33, v3
.LBB11_70:
	s_or_b64 exec, exec, s[4:5]
	s_and_saveexec_b64 s[4:5], s[20:21]
	s_cbranch_execz .LBB11_72
; %bb.71:
	ds_read_u16 v3, v8 offset:8192
	s_movk_i32 s6, 0x8000
	v_mov_b32_e32 v22, 0x7fff
	s_waitcnt lgkmcnt(0)
	v_cmp_ne_u16_e32 vcc, s6, v3
	s_nop 1
	v_cndmask_b32_e32 v3, v22, v3, vcc
	v_lshrrev_b32_sdwa v3, s48, v3 dst_sel:DWORD dst_unused:UNUSED_PAD src0_sel:DWORD src1_sel:WORD_0
	v_and_b32_e32 v22, s33, v3
.LBB11_72:
	;; [unrolled: 30-line block ×3, first 2 shown]
	s_or_b64 exec, exec, s[4:5]
	v_lshlrev_b32_e32 v8, 3, v28
	s_barrier
	s_waitcnt vmcnt(0)
	ds_write_b64 v8, v[10:11] offset:2048
	v_lshlrev_b32_e32 v8, 3, v27
	ds_write_b64 v8, v[12:13] offset:2048
	v_lshlrev_b32_e32 v8, 3, v26
	;; [unrolled: 2-line block ×5, first 2 shown]
	v_lshlrev_b32_e32 v8, 3, v2
	ds_write_b64 v7, v[20:21] offset:2048
	s_waitcnt lgkmcnt(0)
	s_barrier
	s_and_saveexec_b64 s[4:5], s[14:15]
	s_cbranch_execnz .LBB11_132
; %bb.77:
	s_or_b64 exec, exec, s[4:5]
	s_and_saveexec_b64 s[4:5], s[16:17]
	s_cbranch_execnz .LBB11_133
.LBB11_78:
	s_or_b64 exec, exec, s[4:5]
	s_and_saveexec_b64 s[4:5], s[18:19]
	s_cbranch_execnz .LBB11_134
.LBB11_79:
	s_or_b64 exec, exec, s[4:5]
	s_and_saveexec_b64 s[4:5], s[20:21]
	s_cbranch_execnz .LBB11_135
.LBB11_80:
	s_or_b64 exec, exec, s[4:5]
	s_and_saveexec_b64 s[4:5], s[22:23]
	s_cbranch_execnz .LBB11_136
.LBB11_81:
	s_or_b64 exec, exec, s[4:5]
	s_and_saveexec_b64 s[4:5], s[24:25]
	s_cbranch_execz .LBB11_83
.LBB11_82:
	v_lshlrev_b32_e32 v3, 3, v3
	ds_read_b64 v[10:11], v3
	ds_read_b64 v[8:9], v8 offset:43008
	v_lshlrev_b32_e32 v12, 3, v33
	v_mov_b32_e32 v13, 0
	s_waitcnt lgkmcnt(1)
	v_lshl_add_u64 v[10:11], v[10:11], 3, s[42:43]
	v_lshl_add_u64 v[10:11], v[10:11], 0, v[12:13]
	s_waitcnt lgkmcnt(0)
	global_store_dwordx2 v[10:11], v[8:9], off
.LBB11_83:
	s_or_b64 exec, exec, s[4:5]
	s_add_i32 s3, s3, -1
	s_cmp_eq_u32 s2, s3
	s_cselect_b64 s[4:5], -1, 0
	s_and_b64 s[6:7], s[12:13], s[4:5]
	s_mov_b64 s[4:5], 0
	s_mov_b64 s[10:11], 0
                                        ; implicit-def: $vgpr8_vgpr9
	s_and_saveexec_b64 s[8:9], s[6:7]
	s_xor_b64 s[6:7], exec, s[8:9]
; %bb.84:
	v_mov_b32_e32 v7, 0
	s_mov_b64 s[10:11], exec
	v_lshl_add_u64 v[8:9], v[4:5], 0, v[6:7]
	v_mov_b32_e32 v3, v7
; %bb.85:
	s_or_b64 exec, exec, s[6:7]
	s_and_b64 vcc, exec, s[4:5]
	s_cbranch_vccnz .LBB11_87
	s_branch .LBB11_124
.LBB11_86:
	s_mov_b64 s[10:11], 0
                                        ; implicit-def: $vgpr8_vgpr9
                                        ; implicit-def: $vgpr2_vgpr3
	s_cbranch_execz .LBB11_124
.LBB11_87:
	s_mov_b32 s31, 0
	s_lshl_b64 s[4:5], s[30:31], 1
	v_and_b32_e32 v2, 0x3ff, v0
	s_add_u32 s4, s36, s4
	v_mbcnt_hi_u32_b32 v13, -1, v1
	s_addc_u32 s5, s37, s5
	v_mov_b32_e32 v5, 0
	v_and_b32_e32 v1, 0x3c0, v2
	v_lshlrev_b32_e32 v4, 1, v13
	v_mul_u32_u24_e32 v12, 6, v1
	v_lshl_add_u64 v[6:7], s[4:5], 0, v[4:5]
	s_load_dword s3, s[0:1], 0x50
	s_load_dword s4, s[0:1], 0x5c
	v_lshlrev_b32_e32 v4, 1, v12
	v_lshl_add_u64 v[18:19], v[6:7], 0, v[4:5]
	global_load_ushort v1, v[18:19], off
	s_add_u32 s0, s0, 0x50
	s_addc_u32 s1, s1, 0
	s_waitcnt lgkmcnt(0)
	s_lshr_b32 s4, s4, 16
	s_cmp_lt_u32 s2, s3
	s_cselect_b32 s5, 12, 18
	s_add_u32 s0, s0, s5
	s_addc_u32 s1, s1, 0
	global_load_ushort v4, v5, s[0:1]
	v_mul_u32_u24_e32 v6, 5, v2
	v_lshlrev_b32_e32 v6, 2, v6
	ds_write2_b32 v6, v5, v5 offset0:16 offset1:17
	ds_write2_b32 v6, v5, v5 offset0:18 offset1:19
	ds_write_b32 v6, v5 offset:80
	global_load_ushort v9, v[18:19], off offset:128
	global_load_ushort v15, v[18:19], off offset:256
	;; [unrolled: 1-line block ×5, first 2 shown]
	v_mov_b32_e32 v10, 0x7fff
	v_bfe_u32 v3, v0, 10, 10
	v_bfe_u32 v7, v0, 20, 10
	v_mad_u32_u24 v7, v7, s4, v3
	s_movk_i32 s12, 0x8000
	s_lshl_b32 s0, -1, s49
	s_not_b32 s14, s0
	v_mov_b32_e32 v0, v5
	v_mov_b32_e32 v24, v5
	;; [unrolled: 1-line block ×4, first 2 shown]
	s_waitcnt lgkmcnt(0)
	s_barrier
	s_waitcnt lgkmcnt(0)
	; wave barrier
	s_waitcnt vmcnt(6)
	v_cmp_gt_i16_e32 vcc, 0, v1
	s_nop 1
	v_cndmask_b32_e64 v3, v10, 0, vcc
	v_xor_b32_e32 v3, v3, v1
	v_cmp_ne_u16_e32 vcc, s12, v3
	s_waitcnt vmcnt(5)
	v_mad_u64_u32 v[18:19], s[0:1], v7, v4, v[2:3]
	v_cndmask_b32_e32 v1, v10, v3, vcc
	v_lshrrev_b32_sdwa v1, s48, v1 dst_sel:DWORD dst_unused:UNUSED_PAD src0_sel:DWORD src1_sel:WORD_0
	v_and_b32_e32 v8, s14, v1
	v_and_b32_e32 v4, 1, v8
	v_lshlrev_b32_e32 v1, 30, v8
	v_lshlrev_b32_e32 v25, 29, v8
	v_lshl_add_u64 v[30:31], v[4:5], 0, -1
	v_cmp_ne_u32_e32 vcc, 0, v4
	v_cmp_gt_i64_e64 s[0:1], 0, v[0:1]
	v_not_b32_e32 v0, v1
	v_lshlrev_b32_e32 v27, 28, v8
	v_not_b32_e32 v1, v25
	v_xor_b32_e32 v14, vcc_hi, v31
	v_xor_b32_e32 v16, vcc_lo, v30
	v_ashrrev_i32_e32 v0, 31, v0
	v_lshlrev_b32_e32 v29, 27, v8
	v_cmp_gt_i64_e64 s[4:5], 0, v[24:25]
	v_not_b32_e32 v4, v27
	v_ashrrev_i32_e32 v1, 31, v1
	v_and_b32_e32 v14, exec_hi, v14
	v_and_b32_e32 v16, exec_lo, v16
	v_xor_b32_e32 v19, s1, v0
	v_xor_b32_e32 v0, s0, v0
	v_cmp_gt_i64_e64 s[6:7], 0, v[26:27]
	v_not_b32_e32 v11, v29
	v_ashrrev_i32_e32 v4, 31, v4
	v_xor_b32_e32 v20, s5, v1
	v_xor_b32_e32 v1, s4, v1
	v_and_b32_e32 v14, v14, v19
	v_and_b32_e32 v0, v16, v0
	v_cmp_gt_i64_e64 s[8:9], 0, v[28:29]
	v_ashrrev_i32_e32 v11, 31, v11
	v_xor_b32_e32 v22, s7, v4
	v_xor_b32_e32 v4, s6, v4
	v_and_b32_e32 v14, v14, v20
	v_and_b32_e32 v0, v0, v1
	v_xor_b32_e32 v24, s9, v11
	v_xor_b32_e32 v11, s8, v11
	v_and_b32_e32 v1, v14, v22
	v_and_b32_e32 v0, v0, v4
	;; [unrolled: 1-line block ×4, first 2 shown]
	v_lshlrev_b32_e32 v1, 26, v8
	v_mov_b32_e32 v0, v5
	v_cmp_gt_i64_e32 vcc, 0, v[0:1]
	v_not_b32_e32 v0, v1
	v_ashrrev_i32_e32 v0, 31, v0
	v_xor_b32_e32 v1, vcc_hi, v0
	v_xor_b32_e32 v0, vcc_lo, v0
	v_and_b32_e32 v4, v4, v1
	v_and_b32_e32 v11, v11, v0
	v_lshlrev_b32_e32 v1, 25, v8
	v_mov_b32_e32 v0, v5
	v_cmp_gt_i64_e32 vcc, 0, v[0:1]
	v_not_b32_e32 v0, v1
	v_ashrrev_i32_e32 v0, 31, v0
	v_xor_b32_e32 v1, vcc_hi, v0
	v_xor_b32_e32 v0, vcc_lo, v0
	v_and_b32_e32 v4, v4, v1
	v_and_b32_e32 v11, v11, v0
	;; [unrolled: 9-line block ×3, first 2 shown]
	v_mbcnt_lo_u32_b32 v4, v0, 0
	v_mul_u32_u24_e32 v7, 17, v8
	v_mbcnt_hi_u32_b32 v8, v1, v4
	v_lshrrev_b32_e32 v18, 6, v18
	v_cmp_eq_u32_e32 vcc, 0, v8
	v_cmp_ne_u64_e64 s[0:1], 0, v[0:1]
	v_add_lshl_u32 v7, v18, v7, 2
	s_and_b64 s[4:5], s[0:1], vcc
	s_and_saveexec_b64 s[0:1], s[4:5]
	s_cbranch_execz .LBB11_89
; %bb.88:
	v_bcnt_u32_b32 v0, v0, 0
	v_bcnt_u32_b32 v0, v1, v0
	ds_write_b32 v7, v0 offset:64
.LBB11_89:
	s_or_b64 exec, exec, s[0:1]
	s_waitcnt vmcnt(4)
	v_cmp_gt_i16_e32 vcc, 0, v9
	; wave barrier
	s_nop 1
	v_cndmask_b32_e64 v0, v10, 0, vcc
	v_xor_b32_e32 v9, v0, v9
	v_cmp_ne_u16_e32 vcc, s12, v9
	s_nop 1
	v_cndmask_b32_e32 v0, v10, v9, vcc
	v_lshrrev_b32_sdwa v0, s48, v0 dst_sel:DWORD dst_unused:UNUSED_PAD src0_sel:DWORD src1_sel:WORD_0
	v_and_b32_e32 v14, s14, v0
	v_mul_u32_u24_e32 v0, 17, v14
	v_and_b32_e32 v4, 1, v14
	v_add_lshl_u32 v11, v18, v0, 2
	v_lshl_add_u64 v[0:1], v[4:5], 0, -1
	v_cmp_ne_u32_e32 vcc, 0, v4
	ds_read_b32 v10, v11 offset:64
	s_nop 0
	v_xor_b32_e32 v1, vcc_hi, v1
	v_xor_b32_e32 v0, vcc_lo, v0
	v_and_b32_e32 v4, exec_hi, v1
	v_and_b32_e32 v16, exec_lo, v0
	v_lshlrev_b32_e32 v1, 30, v14
	v_mov_b32_e32 v0, v5
	v_cmp_gt_i64_e32 vcc, 0, v[0:1]
	v_not_b32_e32 v0, v1
	v_ashrrev_i32_e32 v0, 31, v0
	v_xor_b32_e32 v1, vcc_hi, v0
	v_xor_b32_e32 v0, vcc_lo, v0
	v_and_b32_e32 v4, v4, v1
	v_and_b32_e32 v16, v16, v0
	v_lshlrev_b32_e32 v1, 29, v14
	v_mov_b32_e32 v0, v5
	v_cmp_gt_i64_e32 vcc, 0, v[0:1]
	v_not_b32_e32 v0, v1
	v_ashrrev_i32_e32 v0, 31, v0
	v_xor_b32_e32 v1, vcc_hi, v0
	v_xor_b32_e32 v0, vcc_lo, v0
	v_and_b32_e32 v4, v4, v1
	v_and_b32_e32 v16, v16, v0
	;; [unrolled: 9-line block ×7, first 2 shown]
	v_mbcnt_lo_u32_b32 v4, v0, 0
	v_mbcnt_hi_u32_b32 v14, v1, v4
	v_cmp_eq_u32_e32 vcc, 0, v14
	v_cmp_ne_u64_e64 s[0:1], 0, v[0:1]
	s_and_b64 s[4:5], s[0:1], vcc
	; wave barrier
	s_and_saveexec_b64 s[0:1], s[4:5]
	s_cbranch_execz .LBB11_91
; %bb.90:
	v_bcnt_u32_b32 v0, v0, 0
	v_bcnt_u32_b32 v0, v1, v0
	s_waitcnt lgkmcnt(0)
	v_add_u32_e32 v0, v10, v0
	ds_write_b32 v11, v0 offset:64
.LBB11_91:
	s_or_b64 exec, exec, s[0:1]
	v_mov_b32_e32 v22, 0x7fff
	s_waitcnt vmcnt(3)
	v_cmp_gt_i16_e32 vcc, 0, v15
	s_movk_i32 s4, 0x8000
	v_mov_b32_e32 v1, 0
	v_cndmask_b32_e64 v0, v22, 0, vcc
	v_xor_b32_e32 v15, v0, v15
	v_cmp_ne_u16_e32 vcc, s4, v15
	; wave barrier
	s_nop 1
	v_cndmask_b32_e32 v0, v22, v15, vcc
	v_lshrrev_b32_sdwa v0, s48, v0 dst_sel:DWORD dst_unused:UNUSED_PAD src0_sel:DWORD src1_sel:WORD_0
	v_and_b32_e32 v20, s14, v0
	v_mul_u32_u24_e32 v0, 17, v20
	v_add_lshl_u32 v19, v18, v0, 2
	v_and_b32_e32 v0, 1, v20
	v_lshl_add_u64 v[4:5], v[0:1], 0, -1
	v_cmp_ne_u32_e32 vcc, 0, v0
	ds_read_b32 v16, v19 offset:64
	s_nop 0
	v_xor_b32_e32 v4, vcc_lo, v4
	v_xor_b32_e32 v0, vcc_hi, v5
	v_and_b32_e32 v24, exec_lo, v4
	v_lshlrev_b32_e32 v5, 30, v20
	v_mov_b32_e32 v4, v1
	v_cmp_gt_i64_e32 vcc, 0, v[4:5]
	v_not_b32_e32 v4, v5
	v_ashrrev_i32_e32 v4, 31, v4
	v_and_b32_e32 v0, exec_hi, v0
	v_xor_b32_e32 v5, vcc_hi, v4
	v_xor_b32_e32 v4, vcc_lo, v4
	v_and_b32_e32 v0, v0, v5
	v_and_b32_e32 v24, v24, v4
	v_lshlrev_b32_e32 v5, 29, v20
	v_mov_b32_e32 v4, v1
	v_cmp_gt_i64_e32 vcc, 0, v[4:5]
	v_not_b32_e32 v4, v5
	v_ashrrev_i32_e32 v4, 31, v4
	v_xor_b32_e32 v5, vcc_hi, v4
	v_xor_b32_e32 v4, vcc_lo, v4
	v_and_b32_e32 v0, v0, v5
	v_and_b32_e32 v24, v24, v4
	v_lshlrev_b32_e32 v5, 28, v20
	v_mov_b32_e32 v4, v1
	v_cmp_gt_i64_e32 vcc, 0, v[4:5]
	v_not_b32_e32 v4, v5
	v_ashrrev_i32_e32 v4, 31, v4
	;; [unrolled: 9-line block ×6, first 2 shown]
	v_xor_b32_e32 v5, vcc_hi, v4
	v_xor_b32_e32 v4, vcc_lo, v4
	v_and_b32_e32 v4, v24, v4
	v_and_b32_e32 v5, v0, v5
	v_mbcnt_lo_u32_b32 v0, v4, 0
	v_mbcnt_hi_u32_b32 v20, v5, v0
	v_cmp_eq_u32_e32 vcc, 0, v20
	v_cmp_ne_u64_e64 s[0:1], 0, v[4:5]
	s_and_b64 s[6:7], s[0:1], vcc
	; wave barrier
	s_and_saveexec_b64 s[0:1], s[6:7]
	s_cbranch_execz .LBB11_93
; %bb.92:
	v_bcnt_u32_b32 v0, v4, 0
	v_bcnt_u32_b32 v0, v5, v0
	s_waitcnt lgkmcnt(0)
	v_add_u32_e32 v0, v16, v0
	ds_write_b32 v19, v0 offset:64
.LBB11_93:
	s_or_b64 exec, exec, s[0:1]
	s_waitcnt vmcnt(2)
	v_cmp_gt_i16_e32 vcc, 0, v21
	; wave barrier
	s_nop 1
	v_cndmask_b32_e64 v0, v22, 0, vcc
	v_xor_b32_e32 v21, v0, v21
	v_cmp_ne_u16_e32 vcc, s4, v21
	s_nop 1
	v_cndmask_b32_e32 v0, v22, v21, vcc
	v_lshrrev_b32_sdwa v0, s48, v0 dst_sel:DWORD dst_unused:UNUSED_PAD src0_sel:DWORD src1_sel:WORD_0
	v_and_b32_e32 v25, s14, v0
	v_mul_u32_u24_e32 v0, 17, v25
	v_add_lshl_u32 v24, v18, v0, 2
	v_and_b32_e32 v0, 1, v25
	v_lshl_add_u64 v[4:5], v[0:1], 0, -1
	v_cmp_ne_u32_e32 vcc, 0, v0
	ds_read_b32 v22, v24 offset:64
	s_nop 0
	v_xor_b32_e32 v4, vcc_lo, v4
	v_xor_b32_e32 v0, vcc_hi, v5
	v_and_b32_e32 v26, exec_lo, v4
	v_lshlrev_b32_e32 v5, 30, v25
	v_mov_b32_e32 v4, v1
	v_cmp_gt_i64_e32 vcc, 0, v[4:5]
	v_not_b32_e32 v4, v5
	v_ashrrev_i32_e32 v4, 31, v4
	v_and_b32_e32 v0, exec_hi, v0
	v_xor_b32_e32 v5, vcc_hi, v4
	v_xor_b32_e32 v4, vcc_lo, v4
	v_and_b32_e32 v0, v0, v5
	v_and_b32_e32 v26, v26, v4
	v_lshlrev_b32_e32 v5, 29, v25
	v_mov_b32_e32 v4, v1
	v_cmp_gt_i64_e32 vcc, 0, v[4:5]
	v_not_b32_e32 v4, v5
	v_ashrrev_i32_e32 v4, 31, v4
	v_xor_b32_e32 v5, vcc_hi, v4
	v_xor_b32_e32 v4, vcc_lo, v4
	v_and_b32_e32 v0, v0, v5
	v_and_b32_e32 v26, v26, v4
	v_lshlrev_b32_e32 v5, 28, v25
	v_mov_b32_e32 v4, v1
	v_cmp_gt_i64_e32 vcc, 0, v[4:5]
	v_not_b32_e32 v4, v5
	v_ashrrev_i32_e32 v4, 31, v4
	;; [unrolled: 9-line block ×5, first 2 shown]
	v_xor_b32_e32 v5, vcc_hi, v4
	v_xor_b32_e32 v4, vcc_lo, v4
	v_and_b32_e32 v0, v0, v5
	v_lshlrev_b32_e32 v5, 24, v25
	v_and_b32_e32 v26, v26, v4
	v_mov_b32_e32 v4, v1
	v_not_b32_e32 v1, v5
	v_cmp_gt_i64_e32 vcc, 0, v[4:5]
	v_ashrrev_i32_e32 v1, 31, v1
	; wave barrier
	s_nop 0
	v_xor_b32_e32 v4, vcc_hi, v1
	v_xor_b32_e32 v5, vcc_lo, v1
	v_and_b32_e32 v1, v0, v4
	v_and_b32_e32 v0, v26, v5
	v_mbcnt_lo_u32_b32 v4, v0, 0
	v_mbcnt_hi_u32_b32 v25, v1, v4
	v_cmp_eq_u32_e32 vcc, 0, v25
	v_cmp_ne_u64_e64 s[0:1], 0, v[0:1]
	s_and_b64 s[4:5], s[0:1], vcc
	s_and_saveexec_b64 s[0:1], s[4:5]
	s_cbranch_execz .LBB11_95
; %bb.94:
	v_bcnt_u32_b32 v0, v0, 0
	v_bcnt_u32_b32 v0, v1, v0
	s_waitcnt lgkmcnt(0)
	v_add_u32_e32 v0, v22, v0
	ds_write_b32 v24, v0 offset:64
.LBB11_95:
	s_or_b64 exec, exec, s[0:1]
	v_mov_b32_e32 v30, 0x7fff
	s_waitcnt vmcnt(1)
	v_cmp_gt_i16_e32 vcc, 0, v23
	s_movk_i32 s4, 0x8000
	v_mov_b32_e32 v1, 0
	v_cndmask_b32_e64 v0, v30, 0, vcc
	v_xor_b32_e32 v23, v0, v23
	v_cmp_ne_u16_e32 vcc, s4, v23
	; wave barrier
	s_nop 1
	v_cndmask_b32_e32 v0, v30, v23, vcc
	v_lshrrev_b32_sdwa v0, s48, v0 dst_sel:DWORD dst_unused:UNUSED_PAD src0_sel:DWORD src1_sel:WORD_0
	v_and_b32_e32 v28, s14, v0
	v_mul_u32_u24_e32 v0, 17, v28
	v_add_lshl_u32 v27, v0, v18, 2
	v_and_b32_e32 v0, 1, v28
	v_lshl_add_u64 v[4:5], v[0:1], 0, -1
	v_cmp_ne_u32_e32 vcc, 0, v0
	ds_read_b32 v26, v27 offset:64
	s_nop 0
	v_xor_b32_e32 v4, vcc_lo, v4
	v_xor_b32_e32 v0, vcc_hi, v5
	v_and_b32_e32 v29, exec_lo, v4
	v_lshlrev_b32_e32 v5, 30, v28
	v_mov_b32_e32 v4, v1
	v_cmp_gt_i64_e32 vcc, 0, v[4:5]
	v_not_b32_e32 v4, v5
	v_ashrrev_i32_e32 v4, 31, v4
	v_and_b32_e32 v0, exec_hi, v0
	v_xor_b32_e32 v5, vcc_hi, v4
	v_xor_b32_e32 v4, vcc_lo, v4
	v_and_b32_e32 v0, v0, v5
	v_and_b32_e32 v29, v29, v4
	v_lshlrev_b32_e32 v5, 29, v28
	v_mov_b32_e32 v4, v1
	v_cmp_gt_i64_e32 vcc, 0, v[4:5]
	v_not_b32_e32 v4, v5
	v_ashrrev_i32_e32 v4, 31, v4
	v_xor_b32_e32 v5, vcc_hi, v4
	v_xor_b32_e32 v4, vcc_lo, v4
	v_and_b32_e32 v0, v0, v5
	v_and_b32_e32 v29, v29, v4
	v_lshlrev_b32_e32 v5, 28, v28
	v_mov_b32_e32 v4, v1
	v_cmp_gt_i64_e32 vcc, 0, v[4:5]
	v_not_b32_e32 v4, v5
	v_ashrrev_i32_e32 v4, 31, v4
	;; [unrolled: 9-line block ×6, first 2 shown]
	v_xor_b32_e32 v5, vcc_hi, v4
	v_xor_b32_e32 v4, vcc_lo, v4
	v_and_b32_e32 v4, v29, v4
	v_and_b32_e32 v5, v0, v5
	v_mbcnt_lo_u32_b32 v0, v4, 0
	v_mbcnt_hi_u32_b32 v28, v5, v0
	v_cmp_eq_u32_e32 vcc, 0, v28
	v_cmp_ne_u64_e64 s[0:1], 0, v[4:5]
	s_and_b64 s[6:7], s[0:1], vcc
	; wave barrier
	s_and_saveexec_b64 s[0:1], s[6:7]
	s_cbranch_execz .LBB11_97
; %bb.96:
	v_bcnt_u32_b32 v0, v4, 0
	v_bcnt_u32_b32 v0, v5, v0
	s_waitcnt lgkmcnt(0)
	v_add_u32_e32 v0, v26, v0
	ds_write_b32 v27, v0 offset:64
.LBB11_97:
	s_or_b64 exec, exec, s[0:1]
	s_waitcnt vmcnt(0)
	v_cmp_gt_i16_e32 vcc, 0, v17
	; wave barrier
	s_nop 1
	v_cndmask_b32_e64 v0, v30, 0, vcc
	v_xor_b32_e32 v29, v0, v17
	v_cmp_ne_u16_e32 vcc, s4, v29
	v_add_u32_e32 v31, 64, v6
	s_nop 0
	v_cndmask_b32_e32 v0, v30, v29, vcc
	v_lshrrev_b32_sdwa v0, s48, v0 dst_sel:DWORD dst_unused:UNUSED_PAD src0_sel:DWORD src1_sel:WORD_0
	v_and_b32_e32 v32, s14, v0
	v_mul_u32_u24_e32 v0, 17, v32
	v_add_lshl_u32 v17, v0, v18, 2
	v_and_b32_e32 v0, 1, v32
	v_lshl_add_u64 v[4:5], v[0:1], 0, -1
	v_cmp_ne_u32_e32 vcc, 0, v0
	ds_read_b32 v30, v17 offset:64
	s_nop 0
	v_xor_b32_e32 v4, vcc_lo, v4
	v_xor_b32_e32 v0, vcc_hi, v5
	v_and_b32_e32 v18, exec_lo, v4
	v_lshlrev_b32_e32 v5, 30, v32
	v_mov_b32_e32 v4, v1
	v_cmp_gt_i64_e32 vcc, 0, v[4:5]
	v_not_b32_e32 v4, v5
	v_ashrrev_i32_e32 v4, 31, v4
	v_and_b32_e32 v0, exec_hi, v0
	v_xor_b32_e32 v5, vcc_hi, v4
	v_xor_b32_e32 v4, vcc_lo, v4
	v_and_b32_e32 v0, v0, v5
	v_and_b32_e32 v18, v18, v4
	v_lshlrev_b32_e32 v5, 29, v32
	v_mov_b32_e32 v4, v1
	v_cmp_gt_i64_e32 vcc, 0, v[4:5]
	v_not_b32_e32 v4, v5
	v_ashrrev_i32_e32 v4, 31, v4
	v_xor_b32_e32 v5, vcc_hi, v4
	v_xor_b32_e32 v4, vcc_lo, v4
	v_and_b32_e32 v0, v0, v5
	v_and_b32_e32 v18, v18, v4
	v_lshlrev_b32_e32 v5, 28, v32
	v_mov_b32_e32 v4, v1
	v_cmp_gt_i64_e32 vcc, 0, v[4:5]
	v_not_b32_e32 v4, v5
	v_ashrrev_i32_e32 v4, 31, v4
	;; [unrolled: 9-line block ×5, first 2 shown]
	v_xor_b32_e32 v5, vcc_hi, v4
	v_xor_b32_e32 v4, vcc_lo, v4
	v_and_b32_e32 v0, v0, v5
	v_lshlrev_b32_e32 v5, 24, v32
	v_and_b32_e32 v18, v18, v4
	v_mov_b32_e32 v4, v1
	v_not_b32_e32 v1, v5
	v_cmp_gt_i64_e32 vcc, 0, v[4:5]
	v_ashrrev_i32_e32 v1, 31, v1
	; wave barrier
	s_nop 0
	v_xor_b32_e32 v4, vcc_hi, v1
	v_xor_b32_e32 v5, vcc_lo, v1
	v_and_b32_e32 v1, v0, v4
	v_and_b32_e32 v0, v18, v5
	v_mbcnt_lo_u32_b32 v4, v0, 0
	v_mbcnt_hi_u32_b32 v32, v1, v4
	v_cmp_eq_u32_e32 vcc, 0, v32
	v_cmp_ne_u64_e64 s[0:1], 0, v[0:1]
	s_and_b64 s[4:5], s[0:1], vcc
	s_and_saveexec_b64 s[0:1], s[4:5]
	s_cbranch_execz .LBB11_99
; %bb.98:
	v_bcnt_u32_b32 v0, v0, 0
	v_bcnt_u32_b32 v0, v1, v0
	s_waitcnt lgkmcnt(0)
	v_add_u32_e32 v0, v30, v0
	ds_write_b32 v17, v0 offset:64
.LBB11_99:
	s_or_b64 exec, exec, s[0:1]
	; wave barrier
	s_waitcnt lgkmcnt(0)
	s_barrier
	ds_read2_b32 v[4:5], v6 offset0:16 offset1:17
	ds_read2_b32 v[0:1], v31 offset0:2 offset1:3
	ds_read_b32 v18, v31 offset:16
	v_cmp_lt_u32_e64 s[8:9], 31, v13
	s_waitcnt lgkmcnt(1)
	v_add3_u32 v33, v5, v4, v0
	s_waitcnt lgkmcnt(0)
	v_add3_u32 v18, v33, v1, v18
	v_and_b32_e32 v33, 15, v13
	v_cmp_eq_u32_e32 vcc, 0, v33
	v_mov_b32_dpp v34, v18 row_shr:1 row_mask:0xf bank_mask:0xf
	v_cmp_lt_u32_e64 s[0:1], 1, v33
	v_cndmask_b32_e64 v34, v34, 0, vcc
	v_add_u32_e32 v18, v34, v18
	v_cmp_lt_u32_e64 s[6:7], 3, v33
	v_cmp_lt_u32_e64 s[4:5], 7, v33
	v_mov_b32_dpp v34, v18 row_shr:2 row_mask:0xf bank_mask:0xf
	v_cndmask_b32_e64 v34, 0, v34, s[0:1]
	v_add_u32_e32 v18, v18, v34
	s_nop 1
	v_mov_b32_dpp v34, v18 row_shr:4 row_mask:0xf bank_mask:0xf
	v_cndmask_b32_e64 v34, 0, v34, s[6:7]
	v_add_u32_e32 v18, v18, v34
	s_nop 1
	v_mov_b32_dpp v34, v18 row_shr:8 row_mask:0xf bank_mask:0xf
	v_cndmask_b32_e64 v33, 0, v34, s[4:5]
	v_add_u32_e32 v18, v18, v33
	v_bfe_i32 v34, v13, 4, 1
	s_nop 0
	v_mov_b32_dpp v33, v18 row_bcast:15 row_mask:0xf bank_mask:0xf
	v_and_b32_e32 v33, v34, v33
	v_add_u32_e32 v18, v18, v33
	v_and_b32_e32 v34, 63, v2
	s_nop 0
	v_mov_b32_dpp v33, v18 row_bcast:31 row_mask:0xf bank_mask:0xf
	v_cndmask_b32_e64 v33, 0, v33, s[8:9]
	v_add_u32_e32 v18, v18, v33
	v_lshrrev_b32_e32 v33, 6, v2
	v_cmp_eq_u32_e64 s[8:9], 63, v34
	s_and_saveexec_b64 s[12:13], s[8:9]
	s_cbranch_execz .LBB11_101
; %bb.100:
	v_lshlrev_b32_e32 v34, 2, v33
	ds_write_b32 v34, v18
.LBB11_101:
	s_or_b64 exec, exec, s[12:13]
	v_cmp_gt_u32_e64 s[8:9], 16, v2
	s_waitcnt lgkmcnt(0)
	s_barrier
	s_and_saveexec_b64 s[12:13], s[8:9]
	s_cbranch_execz .LBB11_103
; %bb.102:
	v_lshlrev_b32_e32 v34, 2, v2
	ds_read_b32 v35, v34
	s_waitcnt lgkmcnt(0)
	s_nop 0
	v_mov_b32_dpp v36, v35 row_shr:1 row_mask:0xf bank_mask:0xf
	v_cndmask_b32_e64 v36, v36, 0, vcc
	v_add_u32_e32 v35, v36, v35
	s_nop 1
	v_mov_b32_dpp v36, v35 row_shr:2 row_mask:0xf bank_mask:0xf
	v_cndmask_b32_e64 v36, 0, v36, s[0:1]
	v_add_u32_e32 v35, v35, v36
	s_nop 1
	v_mov_b32_dpp v36, v35 row_shr:4 row_mask:0xf bank_mask:0xf
	v_cndmask_b32_e64 v36, 0, v36, s[6:7]
	;; [unrolled: 4-line block ×3, first 2 shown]
	v_add_u32_e32 v35, v35, v36
	ds_write_b32 v34, v35
.LBB11_103:
	s_or_b64 exec, exec, s[12:13]
	v_cmp_lt_u32_e32 vcc, 63, v2
	v_mov_b32_e32 v34, 0
	s_waitcnt lgkmcnt(0)
	s_barrier
	s_and_saveexec_b64 s[0:1], vcc
	s_cbranch_execz .LBB11_105
; %bb.104:
	v_lshl_add_u32 v33, v33, 2, -4
	ds_read_b32 v34, v33
.LBB11_105:
	s_or_b64 exec, exec, s[0:1]
	v_add_u32_e32 v33, -1, v13
	v_and_b32_e32 v35, 64, v13
	v_cmp_lt_i32_e32 vcc, v33, v35
	s_waitcnt lgkmcnt(0)
	v_add_u32_e32 v18, v34, v18
	s_movk_i32 s4, 0xff
	v_cndmask_b32_e32 v33, v33, v13, vcc
	v_lshlrev_b32_e32 v33, 2, v33
	ds_bpermute_b32 v18, v33, v18
	v_cmp_eq_u32_e32 vcc, 0, v13
	s_movk_i32 s5, 0x100
	v_cmp_lt_u32_e64 s[0:1], s4, v2
	s_waitcnt lgkmcnt(0)
	v_cndmask_b32_e32 v18, v18, v34, vcc
	v_cmp_ne_u32_e32 vcc, 0, v2
	s_nop 1
	v_cndmask_b32_e32 v18, 0, v18, vcc
	v_add_u32_e32 v4, v18, v4
	v_add_u32_e32 v5, v4, v5
	;; [unrolled: 1-line block ×4, first 2 shown]
	ds_write2_b32 v6, v18, v4 offset0:16 offset1:17
	ds_write2_b32 v31, v5, v0 offset0:2 offset1:3
	ds_write_b32 v31, v1 offset:16
	s_waitcnt lgkmcnt(0)
	s_barrier
	ds_read_b32 v5, v7 offset:64
	ds_read_b32 v6, v11 offset:64
	ds_read_b32 v7, v19 offset:64
	ds_read_b32 v11, v24 offset:64
	ds_read_b32 v24, v27 offset:64
	ds_read_b32 v27, v17 offset:64
	v_cmp_gt_u32_e32 vcc, s5, v2
	v_mov_b64_e32 v[0:1], 0
                                        ; implicit-def: $vgpr4
	s_and_saveexec_b64 s[6:7], vcc
	s_cbranch_execz .LBB11_109
; %bb.106:
	v_mul_u32_u24_e32 v0, 17, v2
	v_lshlrev_b32_e32 v4, 2, v0
	ds_read_b32 v0, v4 offset:64
	v_cmp_ne_u32_e64 s[4:5], s4, v2
	v_mov_b32_e32 v1, 0x1800
	s_and_saveexec_b64 s[8:9], s[4:5]
	s_cbranch_execz .LBB11_108
; %bb.107:
	ds_read_b32 v1, v4 offset:132
.LBB11_108:
	s_or_b64 exec, exec, s[8:9]
	s_waitcnt lgkmcnt(0)
	v_sub_u32_e32 v4, v1, v0
	v_mov_b32_e32 v1, 0
.LBB11_109:
	s_or_b64 exec, exec, s[6:7]
	s_waitcnt lgkmcnt(5)
	v_add_u32_e32 v19, v5, v8
	s_waitcnt lgkmcnt(4)
	v_add3_u32 v18, v14, v10, v6
	v_lshlrev_b32_e32 v6, 1, v19
	s_waitcnt lgkmcnt(3)
	v_add3_u32 v17, v20, v16, v7
	s_waitcnt lgkmcnt(0)
	s_barrier
	ds_write_b16 v6, v3 offset:2048
	v_lshlrev_b32_e32 v3, 1, v18
	v_add3_u32 v16, v25, v22, v11
	ds_write_b16 v3, v9 offset:2048
	v_lshlrev_b32_e32 v3, 1, v17
	v_add3_u32 v14, v28, v26, v24
	;; [unrolled: 3-line block ×3, first 2 shown]
	ds_write_b16 v3, v21 offset:2048
	v_lshlrev_b32_e32 v3, 1, v14
	ds_write_b16 v3, v23 offset:2048
	v_lshlrev_b32_e32 v3, 1, v5
	ds_write_b16 v3, v29 offset:2048
	s_waitcnt lgkmcnt(0)
	s_barrier
	s_and_saveexec_b64 s[4:5], s[0:1]
	s_xor_b64 s[0:1], exec, s[4:5]
; %bb.110:
	v_mov_b32_e32 v3, 0
; %bb.111:
	s_andn2_saveexec_b64 s[4:5], s[0:1]
	s_cbranch_execz .LBB11_121
; %bb.112:
	v_lshl_or_b32 v8, s2, 8, v2
	v_mov_b32_e32 v9, 0
	v_lshl_add_u64 v[6:7], v[8:9], 2, s[34:35]
	v_or_b32_e32 v3, 2.0, v4
	s_mov_b64 s[6:7], 0
	s_brev_b32 s15, 1
	s_mov_b32 s16, s2
	v_mov_b32_e32 v15, 0
	global_store_dword v[6:7], v3, off sc1
                                        ; implicit-def: $sgpr0_sgpr1
	s_branch .LBB11_115
.LBB11_113:                             ;   in Loop: Header=BB11_115 Depth=1
	s_or_b64 exec, exec, s[12:13]
.LBB11_114:                             ;   in Loop: Header=BB11_115 Depth=1
	s_or_b64 exec, exec, s[8:9]
	v_and_b32_e32 v8, 0x3fffffff, v8
	v_add_u32_e32 v15, v8, v15
	v_cmp_eq_u32_e64 s[0:1], s15, v3
	s_and_b64 s[8:9], exec, s[0:1]
	s_or_b64 s[6:7], s[8:9], s[6:7]
	s_andn2_b64 exec, exec, s[6:7]
	s_cbranch_execz .LBB11_120
.LBB11_115:                             ; =>This Loop Header: Depth=1
                                        ;     Child Loop BB11_118 Depth 2
	s_or_b64 s[0:1], s[0:1], exec
	s_cmp_eq_u32 s16, 0
	s_cbranch_scc1 .LBB11_119
; %bb.116:                              ;   in Loop: Header=BB11_115 Depth=1
	s_add_i32 s16, s16, -1
	v_lshl_or_b32 v8, s16, 8, v2
	v_lshl_add_u64 v[10:11], v[8:9], 2, s[34:35]
	global_load_dword v8, v[10:11], off sc1
	s_waitcnt vmcnt(0)
	v_and_b32_e32 v3, -2.0, v8
	v_cmp_eq_u32_e64 s[0:1], 0, v3
	s_and_saveexec_b64 s[8:9], s[0:1]
	s_cbranch_execz .LBB11_114
; %bb.117:                              ;   in Loop: Header=BB11_115 Depth=1
	s_mov_b64 s[12:13], 0
.LBB11_118:                             ;   Parent Loop BB11_115 Depth=1
                                        ; =>  This Inner Loop Header: Depth=2
	global_load_dword v8, v[10:11], off sc1
	s_waitcnt vmcnt(0)
	v_and_b32_e32 v3, -2.0, v8
	v_cmp_ne_u32_e64 s[0:1], 0, v3
	s_or_b64 s[12:13], s[0:1], s[12:13]
	s_andn2_b64 exec, exec, s[12:13]
	s_cbranch_execnz .LBB11_118
	s_branch .LBB11_113
.LBB11_119:                             ;   in Loop: Header=BB11_115 Depth=1
                                        ; implicit-def: $sgpr16
	s_and_b64 s[8:9], exec, s[0:1]
	s_or_b64 s[6:7], s[8:9], s[6:7]
	s_andn2_b64 exec, exec, s[6:7]
	s_cbranch_execnz .LBB11_115
.LBB11_120:
	s_or_b64 exec, exec, s[6:7]
	v_add_u32_e32 v3, v15, v4
	v_or_b32_e32 v3, 0x80000000, v3
	global_store_dword v[6:7], v3, off sc1
	v_lshlrev_b32_e32 v10, 3, v2
	global_load_dwordx2 v[6:7], v10, s[44:45]
	v_sub_co_u32_e64 v8, s[0:1], v15, v0
	v_mov_b32_e32 v3, 0
	s_nop 0
	v_subb_co_u32_e64 v9, s[0:1], 0, v1, s[0:1]
	s_waitcnt vmcnt(0)
	v_lshl_add_u64 v[6:7], v[8:9], 0, v[6:7]
	ds_write_b64 v10, v[6:7]
.LBB11_121:
	s_or_b64 exec, exec, s[4:5]
	v_lshlrev_b32_e32 v15, 1, v2
	s_waitcnt lgkmcnt(0)
	s_barrier
	ds_read_u16 v40, v15 offset:8192
	ds_read_u16 v43, v15 offset:12288
	;; [unrolled: 1-line block ×4, first 2 shown]
	s_movk_i32 s4, 0x8000
	v_mov_b32_e32 v41, 0x7fff
	s_waitcnt lgkmcnt(3)
	v_cmp_ne_u16_e64 s[0:1], s4, v40
	v_or_b32_e32 v42, 0x800, v2
	v_or_b32_e32 v50, 0xc00, v2
	v_cndmask_b32_e64 v6, v41, v40, s[0:1]
	v_lshrrev_b32_sdwa v6, s48, v6 dst_sel:DWORD dst_unused:UNUSED_PAD src0_sel:DWORD src1_sel:WORD_0
	s_waitcnt lgkmcnt(1)
	v_cmp_ne_u16_e64 s[0:1], s4, v44
	v_and_b32_e32 v6, s14, v6
	v_lshlrev_b32_e32 v47, 3, v6
	v_cndmask_b32_e64 v7, v41, v44, s[0:1]
	s_waitcnt lgkmcnt(0)
	v_cmp_ne_u16_e64 s[0:1], s4, v45
	v_lshrrev_b32_sdwa v7, s48, v7 dst_sel:DWORD dst_unused:UNUSED_PAD src0_sel:DWORD src1_sel:WORD_0
	v_and_b32_e32 v7, s14, v7
	v_cndmask_b32_e64 v6, v41, v45, s[0:1]
	v_lshrrev_b32_sdwa v6, s48, v6 dst_sel:DWORD dst_unused:UNUSED_PAD src0_sel:DWORD src1_sel:WORD_0
	v_and_b32_e32 v6, s14, v6
	v_cmp_ne_u16_e64 s[0:1], s4, v43
	v_lshlrev_b32_e32 v48, 3, v6
	v_lshlrev_b32_e32 v46, 3, v7
	v_cndmask_b32_e64 v6, v41, v43, s[0:1]
	v_lshrrev_b32_sdwa v6, s48, v6 dst_sel:DWORD dst_unused:UNUSED_PAD src0_sel:DWORD src1_sel:WORD_0
	v_and_b32_e32 v8, s14, v6
	ds_read_b64 v[6:7], v46
	v_lshlrev_b32_e32 v49, 3, v8
	ds_read_b64 v[8:9], v47
	ds_read_b64 v[10:11], v48
	;; [unrolled: 1-line block ×3, first 2 shown]
	v_or_b32_e32 v51, 0x1000, v2
	v_or_b32_e32 v52, 0x1400, v2
	s_waitcnt lgkmcnt(3)
	v_lshl_add_u64 v[22:23], v[6:7], 1, s[38:39]
	v_lshlrev_b32_e32 v6, 1, v42
	v_mov_b32_e32 v7, 0
	v_lshl_add_u64 v[22:23], v[22:23], 0, v[6:7]
	s_waitcnt lgkmcnt(2)
	v_lshl_add_u64 v[8:9], v[8:9], 1, s[38:39]
	v_lshlrev_b32_e32 v6, 1, v50
	v_lshl_add_u64 v[8:9], v[8:9], 0, v[6:7]
	s_waitcnt lgkmcnt(1)
	v_lshl_add_u64 v[10:11], v[10:11], 1, s[38:39]
	v_lshlrev_b32_e32 v6, 1, v51
	s_lshl_b64 s[0:1], s[30:31], 3
	v_lshl_add_u64 v[10:11], v[10:11], 0, v[6:7]
	s_waitcnt lgkmcnt(0)
	v_lshl_add_u64 v[20:21], v[20:21], 1, s[38:39]
	v_lshlrev_b32_e32 v6, 1, v52
	s_add_u32 s0, s40, s0
	v_lshl_add_u64 v[20:21], v[20:21], 0, v[6:7]
	s_addc_u32 s1, s41, s1
	v_lshlrev_b32_e32 v6, 3, v13
	v_lshl_add_u64 v[24:25], s[0:1], 0, v[6:7]
	v_lshlrev_b32_e32 v6, 3, v12
	v_lshl_add_u64 v[12:13], v[24:25], 0, v[6:7]
	global_load_dwordx2 v[24:25], v[12:13], off
	global_load_dwordx2 v[26:27], v[12:13], off offset:512
	global_load_dwordx2 v[28:29], v[12:13], off offset:1024
	;; [unrolled: 1-line block ×5, first 2 shown]
	v_lshlrev_b32_e32 v6, 1, v2
	ds_read_u16 v6, v6 offset:2048
	ds_read_u16 v53, v15 offset:4096
	v_lshlrev_b32_e32 v5, 3, v5
	s_add_i32 s3, s3, -1
	s_cmp_eq_u32 s2, s3
	s_waitcnt lgkmcnt(1)
	v_cmp_ne_u16_e64 s[0:1], s4, v6
	s_nop 1
	v_cndmask_b32_e64 v12, v41, v6, s[0:1]
	v_lshrrev_b32_sdwa v12, s48, v12 dst_sel:DWORD dst_unused:UNUSED_PAD src0_sel:DWORD src1_sel:WORD_0
	v_and_b32_e32 v12, s14, v12
	s_waitcnt lgkmcnt(0)
	v_cmp_ne_u16_e64 s[0:1], s4, v53
	v_lshlrev_b32_e32 v54, 3, v12
	ds_read_b64 v[12:13], v54
	v_cndmask_b32_e64 v36, v41, v53, s[0:1]
	v_lshrrev_b32_sdwa v36, s48, v36 dst_sel:DWORD dst_unused:UNUSED_PAD src0_sel:DWORD src1_sel:WORD_0
	v_and_b32_e32 v36, s14, v36
	v_lshlrev_b32_e32 v55, 3, v36
	ds_read_b64 v[36:37], v55
	v_cmp_gt_i16_e64 s[0:1], 0, v6
	s_waitcnt lgkmcnt(1)
	v_lshl_add_u64 v[12:13], v[12:13], 1, s[38:39]
	v_cndmask_b32_e64 v38, v41, 0, s[0:1]
	v_xor_b32_e32 v6, v38, v6
	v_lshlrev_b64 v[38:39], 1, v[2:3]
	v_lshl_add_u64 v[12:13], v[12:13], 0, v[38:39]
	v_cmp_gt_i16_e64 s[0:1], 0, v53
	global_store_short v[12:13], v6, off
	v_or_b32_e32 v6, 0x800, v15
	v_cndmask_b32_e64 v12, v41, 0, s[0:1]
	v_xor_b32_e32 v15, v12, v53
	s_waitcnt lgkmcnt(0)
	v_lshl_add_u64 v[12:13], v[36:37], 1, s[38:39]
	v_lshl_add_u64 v[12:13], v[12:13], 0, v[38:39]
	v_cmp_gt_i16_e64 s[0:1], 0, v44
	global_store_short v[12:13], v15, off offset:2048
	s_nop 0
	v_cndmask_b32_e64 v12, v41, 0, s[0:1]
	v_xor_b32_e32 v12, v12, v44
	v_cmp_gt_i16_e64 s[0:1], 0, v40
	global_store_short v[22:23], v12, off
	s_nop 0
	v_cndmask_b32_e64 v12, v41, 0, s[0:1]
	v_xor_b32_e32 v12, v12, v40
	v_cmp_gt_i16_e64 s[0:1], 0, v45
	global_store_short v[8:9], v12, off
	;; [unrolled: 5-line block ×3, first 2 shown]
	s_nop 0
	v_cndmask_b32_e64 v8, v41, 0, s[0:1]
	v_xor_b32_e32 v8, v8, v43
	global_store_short v[20:21], v8, off
	v_lshlrev_b32_e32 v8, 3, v19
	s_barrier
	s_cselect_b64 s[0:1], -1, 0
	s_and_b64 s[2:3], vcc, s[0:1]
	s_waitcnt vmcnt(11)
	ds_write_b64 v8, v[24:25] offset:2048
	v_lshlrev_b32_e32 v8, 3, v18
	s_waitcnt vmcnt(10)
	ds_write_b64 v8, v[26:27] offset:2048
	v_lshlrev_b32_e32 v8, 3, v17
	;; [unrolled: 3-line block ×4, first 2 shown]
	s_waitcnt vmcnt(7)
	ds_write_b64 v8, v[32:33] offset:2048
	s_waitcnt vmcnt(6)
	ds_write_b64 v5, v[34:35] offset:2048
	s_waitcnt lgkmcnt(0)
	s_barrier
	ds_read_b64 v[8:9], v54
	v_lshlrev_b32_e32 v5, 3, v2
	ds_read_b64 v[12:13], v55
	ds_read_b64 v[14:15], v46
	;; [unrolled: 1-line block ×3, first 2 shown]
	ds_read_b64 v[10:11], v5 offset:2048
	v_mad_u32_u24 v5, v2, 6, v6
	s_waitcnt lgkmcnt(4)
	v_lshl_add_u64 v[8:9], v[8:9], 3, s[42:43]
	v_lshl_add_u64 v[8:9], v[2:3], 3, v[8:9]
	ds_read_b64 v[18:19], v48
	ds_read_b64 v[20:21], v5 offset:40960
	ds_read_b64 v[22:23], v49
	s_waitcnt lgkmcnt(3)
	global_store_dwordx2 v[8:9], v[10:11], off
	ds_read2st64_b64 v[8:11], v5 offset0:16 offset1:32
	v_mov_b32_e32 v6, 0x2000
	v_lshl_add_u64 v[12:13], v[12:13], 3, s[42:43]
	v_lshl_or_b32 v6, v2, 3, v6
	v_lshl_add_u64 v[12:13], v[12:13], 0, v[6:7]
	s_waitcnt lgkmcnt(0)
	global_store_dwordx2 v[12:13], v[8:9], off
	v_lshl_add_u64 v[8:9], v[14:15], 3, s[42:43]
	ds_read2st64_b64 v[12:15], v5 offset0:48 offset1:64
	v_lshlrev_b32_e32 v6, 3, v42
	v_lshl_add_u64 v[8:9], v[8:9], 0, v[6:7]
	global_store_dwordx2 v[8:9], v[10:11], off
	v_lshl_add_u64 v[8:9], v[16:17], 3, s[42:43]
	v_lshlrev_b32_e32 v6, 3, v50
	v_lshl_add_u64 v[8:9], v[8:9], 0, v[6:7]
	s_waitcnt lgkmcnt(0)
	global_store_dwordx2 v[8:9], v[12:13], off
	v_lshl_add_u64 v[8:9], v[18:19], 3, s[42:43]
	v_lshlrev_b32_e32 v6, 3, v51
	v_lshl_add_u64 v[8:9], v[8:9], 0, v[6:7]
	global_store_dwordx2 v[8:9], v[14:15], off
	v_lshl_add_u64 v[8:9], v[22:23], 3, s[42:43]
	v_lshlrev_b32_e32 v6, 3, v52
	v_lshl_add_u64 v[8:9], v[8:9], 0, v[6:7]
	global_store_dwordx2 v[8:9], v[20:21], off
                                        ; implicit-def: $vgpr8_vgpr9
	s_and_saveexec_b64 s[0:1], s[2:3]
; %bb.122:
	v_mov_b32_e32 v5, v7
	v_lshl_add_u64 v[8:9], v[0:1], 0, v[4:5]
	s_or_b64 s[10:11], s[10:11], exec
; %bb.123:
	s_or_b64 exec, exec, s[0:1]
.LBB11_124:
	s_and_saveexec_b64 s[0:1], s[10:11]
	s_cbranch_execnz .LBB11_126
; %bb.125:
	s_endpgm
.LBB11_126:
	v_lshlrev_b32_e32 v0, 3, v2
	ds_read_b64 v[0:1], v0
	v_mov_b32_e32 v4, s46
	v_mov_b32_e32 v5, s47
	v_lshl_add_u64 v[2:3], v[2:3], 3, v[4:5]
	s_waitcnt lgkmcnt(0)
	v_lshl_add_u64 v[0:1], v[0:1], 0, v[8:9]
	global_store_dwordx2 v[2:3], v[0:1], off
	s_endpgm
.LBB11_127:
	global_load_dwordx2 v[10:11], v[22:23], off
	s_or_b64 exec, exec, s[28:29]
                                        ; implicit-def: $vgpr12_vgpr13
	s_and_saveexec_b64 s[28:29], s[26:27]
	s_cbranch_execz .LBB11_59
.LBB11_128:
	global_load_dwordx2 v[12:13], v[22:23], off offset:512
	s_or_b64 exec, exec, s[28:29]
                                        ; implicit-def: $vgpr14_vgpr15
	s_and_saveexec_b64 s[26:27], s[4:5]
	s_cbranch_execz .LBB11_60
.LBB11_129:
	global_load_dwordx2 v[14:15], v[22:23], off offset:1024
	s_or_b64 exec, exec, s[26:27]
                                        ; implicit-def: $vgpr16_vgpr17
	s_and_saveexec_b64 s[4:5], s[6:7]
	s_cbranch_execz .LBB11_61
.LBB11_130:
	global_load_dwordx2 v[16:17], v[22:23], off offset:1536
	s_or_b64 exec, exec, s[4:5]
                                        ; implicit-def: $vgpr18_vgpr19
	s_and_saveexec_b64 s[4:5], s[8:9]
	s_cbranch_execz .LBB11_62
.LBB11_131:
	global_load_dwordx2 v[18:19], v[22:23], off offset:2048
	s_or_b64 exec, exec, s[4:5]
                                        ; implicit-def: $vgpr20_vgpr21
	s_and_saveexec_b64 s[4:5], s[10:11]
	s_cbranch_execnz .LBB11_63
	s_branch .LBB11_64
.LBB11_132:
	v_lshlrev_b32_e32 v7, 3, v9
	ds_read_b64 v[10:11], v7
	ds_read_b64 v[12:13], v8 offset:2048
	v_mov_b32_e32 v9, 0
	s_waitcnt lgkmcnt(1)
	v_lshl_add_u64 v[10:11], v[10:11], 3, s[42:43]
	v_lshl_add_u64 v[10:11], v[10:11], 0, v[8:9]
	s_waitcnt lgkmcnt(0)
	global_store_dwordx2 v[10:11], v[12:13], off
	s_or_b64 exec, exec, s[4:5]
	s_and_saveexec_b64 s[4:5], s[16:17]
	s_cbranch_execz .LBB11_78
.LBB11_133:
	v_lshlrev_b32_e32 v7, 3, v23
	ds_read_b64 v[10:11], v7
	ds_read_b64 v[12:13], v8 offset:10240
	v_lshlrev_b32_e32 v14, 3, v29
	v_mov_b32_e32 v15, 0
	s_waitcnt lgkmcnt(1)
	v_lshl_add_u64 v[10:11], v[10:11], 3, s[42:43]
	v_lshl_add_u64 v[10:11], v[10:11], 0, v[14:15]
	s_waitcnt lgkmcnt(0)
	global_store_dwordx2 v[10:11], v[12:13], off
	s_or_b64 exec, exec, s[4:5]
	s_and_saveexec_b64 s[4:5], s[18:19]
	s_cbranch_execz .LBB11_79
.LBB11_134:
	v_lshlrev_b32_e32 v7, 3, v35
	ds_read_b64 v[10:11], v7
	ds_read_b64 v[12:13], v8 offset:18432
	v_lshlrev_b32_e32 v14, 3, v30
	v_mov_b32_e32 v15, 0
	s_waitcnt lgkmcnt(1)
	v_lshl_add_u64 v[10:11], v[10:11], 3, s[42:43]
	v_lshl_add_u64 v[10:11], v[10:11], 0, v[14:15]
	s_waitcnt lgkmcnt(0)
	global_store_dwordx2 v[10:11], v[12:13], off
	s_or_b64 exec, exec, s[4:5]
	s_and_saveexec_b64 s[4:5], s[20:21]
	s_cbranch_execz .LBB11_80
.LBB11_135:
	v_lshlrev_b32_e32 v7, 3, v22
	ds_read_b64 v[10:11], v7
	ds_read_b64 v[12:13], v8 offset:26624
	v_lshlrev_b32_e32 v14, 3, v31
	v_mov_b32_e32 v15, 0
	s_waitcnt lgkmcnt(1)
	v_lshl_add_u64 v[10:11], v[10:11], 3, s[42:43]
	v_lshl_add_u64 v[10:11], v[10:11], 0, v[14:15]
	s_waitcnt lgkmcnt(0)
	global_store_dwordx2 v[10:11], v[12:13], off
	s_or_b64 exec, exec, s[4:5]
	s_and_saveexec_b64 s[4:5], s[22:23]
	s_cbranch_execz .LBB11_81
.LBB11_136:
	v_lshlrev_b32_e32 v7, 3, v34
	ds_read_b64 v[10:11], v7
	ds_read_b64 v[12:13], v8 offset:34816
	v_lshlrev_b32_e32 v14, 3, v32
	v_mov_b32_e32 v15, 0
	s_waitcnt lgkmcnt(1)
	v_lshl_add_u64 v[10:11], v[10:11], 3, s[42:43]
	v_lshl_add_u64 v[10:11], v[10:11], 0, v[14:15]
	s_waitcnt lgkmcnt(0)
	global_store_dwordx2 v[10:11], v[12:13], off
	s_or_b64 exec, exec, s[4:5]
	s_and_saveexec_b64 s[4:5], s[24:25]
	s_cbranch_execnz .LBB11_82
	s_branch .LBB11_83
	.section	.rodata,"a",@progbits
	.p2align	6, 0x0
	.amdhsa_kernel _ZN7rocprim17ROCPRIM_304000_NS6detail25onesweep_iteration_kernelINS1_34wrapped_radix_sort_onesweep_configINS0_14default_configE12hip_bfloat16N2at4cuda3cub6detail10OpaqueTypeILi8EEEEELb1EPKS5_PS5_PKSB_PSB_mNS0_19identity_decomposerEEEvT1_T2_T3_T4_jPT5_SP_PNS1_23onesweep_lookback_stateET6_jjj
		.amdhsa_group_segment_fixed_size 51200
		.amdhsa_private_segment_fixed_size 0
		.amdhsa_kernarg_size 336
		.amdhsa_user_sgpr_count 2
		.amdhsa_user_sgpr_dispatch_ptr 0
		.amdhsa_user_sgpr_queue_ptr 0
		.amdhsa_user_sgpr_kernarg_segment_ptr 1
		.amdhsa_user_sgpr_dispatch_id 0
		.amdhsa_user_sgpr_kernarg_preload_length 0
		.amdhsa_user_sgpr_kernarg_preload_offset 0
		.amdhsa_user_sgpr_private_segment_size 0
		.amdhsa_uses_dynamic_stack 0
		.amdhsa_enable_private_segment 0
		.amdhsa_system_sgpr_workgroup_id_x 1
		.amdhsa_system_sgpr_workgroup_id_y 0
		.amdhsa_system_sgpr_workgroup_id_z 0
		.amdhsa_system_sgpr_workgroup_info 0
		.amdhsa_system_vgpr_workitem_id 2
		.amdhsa_next_free_vgpr 56
		.amdhsa_next_free_sgpr 52
		.amdhsa_accum_offset 56
		.amdhsa_reserve_vcc 1
		.amdhsa_float_round_mode_32 0
		.amdhsa_float_round_mode_16_64 0
		.amdhsa_float_denorm_mode_32 3
		.amdhsa_float_denorm_mode_16_64 3
		.amdhsa_dx10_clamp 1
		.amdhsa_ieee_mode 1
		.amdhsa_fp16_overflow 0
		.amdhsa_tg_split 0
		.amdhsa_exception_fp_ieee_invalid_op 0
		.amdhsa_exception_fp_denorm_src 0
		.amdhsa_exception_fp_ieee_div_zero 0
		.amdhsa_exception_fp_ieee_overflow 0
		.amdhsa_exception_fp_ieee_underflow 0
		.amdhsa_exception_fp_ieee_inexact 0
		.amdhsa_exception_int_div_zero 0
	.end_amdhsa_kernel
	.section	.text._ZN7rocprim17ROCPRIM_304000_NS6detail25onesweep_iteration_kernelINS1_34wrapped_radix_sort_onesweep_configINS0_14default_configE12hip_bfloat16N2at4cuda3cub6detail10OpaqueTypeILi8EEEEELb1EPKS5_PS5_PKSB_PSB_mNS0_19identity_decomposerEEEvT1_T2_T3_T4_jPT5_SP_PNS1_23onesweep_lookback_stateET6_jjj,"axG",@progbits,_ZN7rocprim17ROCPRIM_304000_NS6detail25onesweep_iteration_kernelINS1_34wrapped_radix_sort_onesweep_configINS0_14default_configE12hip_bfloat16N2at4cuda3cub6detail10OpaqueTypeILi8EEEEELb1EPKS5_PS5_PKSB_PSB_mNS0_19identity_decomposerEEEvT1_T2_T3_T4_jPT5_SP_PNS1_23onesweep_lookback_stateET6_jjj,comdat
.Lfunc_end11:
	.size	_ZN7rocprim17ROCPRIM_304000_NS6detail25onesweep_iteration_kernelINS1_34wrapped_radix_sort_onesweep_configINS0_14default_configE12hip_bfloat16N2at4cuda3cub6detail10OpaqueTypeILi8EEEEELb1EPKS5_PS5_PKSB_PSB_mNS0_19identity_decomposerEEEvT1_T2_T3_T4_jPT5_SP_PNS1_23onesweep_lookback_stateET6_jjj, .Lfunc_end11-_ZN7rocprim17ROCPRIM_304000_NS6detail25onesweep_iteration_kernelINS1_34wrapped_radix_sort_onesweep_configINS0_14default_configE12hip_bfloat16N2at4cuda3cub6detail10OpaqueTypeILi8EEEEELb1EPKS5_PS5_PKSB_PSB_mNS0_19identity_decomposerEEEvT1_T2_T3_T4_jPT5_SP_PNS1_23onesweep_lookback_stateET6_jjj
                                        ; -- End function
	.section	.AMDGPU.csdata,"",@progbits
; Kernel info:
; codeLenInByte = 12196
; NumSgprs: 58
; NumVgprs: 56
; NumAgprs: 0
; TotalNumVgprs: 56
; ScratchSize: 0
; MemoryBound: 0
; FloatMode: 240
; IeeeMode: 1
; LDSByteSize: 51200 bytes/workgroup (compile time only)
; SGPRBlocks: 7
; VGPRBlocks: 6
; NumSGPRsForWavesPerEU: 58
; NumVGPRsForWavesPerEU: 56
; AccumOffset: 56
; Occupancy: 4
; WaveLimiterHint : 1
; COMPUTE_PGM_RSRC2:SCRATCH_EN: 0
; COMPUTE_PGM_RSRC2:USER_SGPR: 2
; COMPUTE_PGM_RSRC2:TRAP_HANDLER: 0
; COMPUTE_PGM_RSRC2:TGID_X_EN: 1
; COMPUTE_PGM_RSRC2:TGID_Y_EN: 0
; COMPUTE_PGM_RSRC2:TGID_Z_EN: 0
; COMPUTE_PGM_RSRC2:TIDIG_COMP_CNT: 2
; COMPUTE_PGM_RSRC3_GFX90A:ACCUM_OFFSET: 13
; COMPUTE_PGM_RSRC3_GFX90A:TG_SPLIT: 0
	.section	.text._ZN7rocprim17ROCPRIM_304000_NS6detail25onesweep_iteration_kernelINS1_34wrapped_radix_sort_onesweep_configINS0_14default_configE12hip_bfloat16N2at4cuda3cub6detail10OpaqueTypeILi8EEEEELb1EPS5_SD_PSB_SE_mNS0_19identity_decomposerEEEvT1_T2_T3_T4_jPT5_SL_PNS1_23onesweep_lookback_stateET6_jjj,"axG",@progbits,_ZN7rocprim17ROCPRIM_304000_NS6detail25onesweep_iteration_kernelINS1_34wrapped_radix_sort_onesweep_configINS0_14default_configE12hip_bfloat16N2at4cuda3cub6detail10OpaqueTypeILi8EEEEELb1EPS5_SD_PSB_SE_mNS0_19identity_decomposerEEEvT1_T2_T3_T4_jPT5_SL_PNS1_23onesweep_lookback_stateET6_jjj,comdat
	.protected	_ZN7rocprim17ROCPRIM_304000_NS6detail25onesweep_iteration_kernelINS1_34wrapped_radix_sort_onesweep_configINS0_14default_configE12hip_bfloat16N2at4cuda3cub6detail10OpaqueTypeILi8EEEEELb1EPS5_SD_PSB_SE_mNS0_19identity_decomposerEEEvT1_T2_T3_T4_jPT5_SL_PNS1_23onesweep_lookback_stateET6_jjj ; -- Begin function _ZN7rocprim17ROCPRIM_304000_NS6detail25onesweep_iteration_kernelINS1_34wrapped_radix_sort_onesweep_configINS0_14default_configE12hip_bfloat16N2at4cuda3cub6detail10OpaqueTypeILi8EEEEELb1EPS5_SD_PSB_SE_mNS0_19identity_decomposerEEEvT1_T2_T3_T4_jPT5_SL_PNS1_23onesweep_lookback_stateET6_jjj
	.globl	_ZN7rocprim17ROCPRIM_304000_NS6detail25onesweep_iteration_kernelINS1_34wrapped_radix_sort_onesweep_configINS0_14default_configE12hip_bfloat16N2at4cuda3cub6detail10OpaqueTypeILi8EEEEELb1EPS5_SD_PSB_SE_mNS0_19identity_decomposerEEEvT1_T2_T3_T4_jPT5_SL_PNS1_23onesweep_lookback_stateET6_jjj
	.p2align	8
	.type	_ZN7rocprim17ROCPRIM_304000_NS6detail25onesweep_iteration_kernelINS1_34wrapped_radix_sort_onesweep_configINS0_14default_configE12hip_bfloat16N2at4cuda3cub6detail10OpaqueTypeILi8EEEEELb1EPS5_SD_PSB_SE_mNS0_19identity_decomposerEEEvT1_T2_T3_T4_jPT5_SL_PNS1_23onesweep_lookback_stateET6_jjj,@function
_ZN7rocprim17ROCPRIM_304000_NS6detail25onesweep_iteration_kernelINS1_34wrapped_radix_sort_onesweep_configINS0_14default_configE12hip_bfloat16N2at4cuda3cub6detail10OpaqueTypeILi8EEEEELb1EPS5_SD_PSB_SE_mNS0_19identity_decomposerEEEvT1_T2_T3_T4_jPT5_SL_PNS1_23onesweep_lookback_stateET6_jjj: ; @_ZN7rocprim17ROCPRIM_304000_NS6detail25onesweep_iteration_kernelINS1_34wrapped_radix_sort_onesweep_configINS0_14default_configE12hip_bfloat16N2at4cuda3cub6detail10OpaqueTypeILi8EEEEELb1EPS5_SD_PSB_SE_mNS0_19identity_decomposerEEEvT1_T2_T3_T4_jPT5_SL_PNS1_23onesweep_lookback_stateET6_jjj
; %bb.0:
	s_load_dwordx4 s[48:51], s[0:1], 0x44
	s_load_dwordx8 s[36:43], s[0:1], 0x0
	s_load_dwordx4 s[44:47], s[0:1], 0x28
	s_load_dwordx2 s[34:35], s[0:1], 0x38
	s_mul_i32 s30, s2, 0x1800
	s_waitcnt lgkmcnt(0)
	s_cmp_ge_u32 s2, s50
	v_mbcnt_lo_u32_b32 v1, -1, 0
	s_cbranch_scc0 .LBB12_86
; %bb.1:
	s_load_dword s3, s[0:1], 0x20
	s_mulk_i32 s50, 0xe800
	s_mov_b32 s31, 0
	v_and_b32_e32 v2, 0x3ff, v0
	s_lshl_b64 s[4:5], s[30:31], 1
	s_waitcnt lgkmcnt(0)
	s_add_i32 s50, s50, s3
	s_add_u32 s4, s36, s4
	v_mbcnt_hi_u32_b32 v14, -1, v1
	v_and_b32_e32 v3, 0x3c0, v2
	s_addc_u32 s5, s37, s5
	v_mul_u32_u24_e32 v3, 6, v3
	v_mov_b32_e32 v5, 0
	v_lshlrev_b32_e32 v4, 1, v14
	v_lshl_add_u64 v[6:7], s[4:5], 0, v[4:5]
	v_lshlrev_b32_e32 v4, 1, v3
	v_lshl_add_u64 v[4:5], v[6:7], 0, v[4:5]
	v_or_b32_e32 v7, v14, v3
	v_cmp_gt_u32_e32 vcc, s50, v7
	v_mov_b32_e32 v11, -1
	v_mov_b32_e32 v6, -1
	s_and_saveexec_b64 s[4:5], vcc
	s_cbranch_execz .LBB12_3
; %bb.2:
	global_load_ushort v6, v[4:5], off
.LBB12_3:
	s_or_b64 exec, exec, s[4:5]
	v_add_u32_e32 v8, 64, v7
	v_cmp_gt_u32_e64 s[26:27], s50, v8
	s_and_saveexec_b64 s[4:5], s[26:27]
	s_cbranch_execz .LBB12_5
; %bb.4:
	global_load_ushort v11, v[4:5], off offset:128
.LBB12_5:
	s_or_b64 exec, exec, s[4:5]
	v_add_u32_e32 v8, 0x80, v7
	v_cmp_gt_u32_e64 s[4:5], s50, v8
	v_mov_b32_e32 v23, -1
	v_mov_b32_e32 v18, -1
	s_and_saveexec_b64 s[6:7], s[4:5]
	s_cbranch_execz .LBB12_7
; %bb.6:
	global_load_ushort v18, v[4:5], off offset:256
.LBB12_7:
	s_or_b64 exec, exec, s[6:7]
	v_add_u32_e32 v8, 0xc0, v7
	v_cmp_gt_u32_e64 s[6:7], s50, v8
	s_and_saveexec_b64 s[8:9], s[6:7]
	s_cbranch_execz .LBB12_9
; %bb.8:
	global_load_ushort v23, v[4:5], off offset:384
.LBB12_9:
	s_or_b64 exec, exec, s[8:9]
	v_add_u32_e32 v8, 0x100, v7
	v_cmp_gt_u32_e64 s[8:9], s50, v8
	v_mov_b32_e32 v15, -1
	v_mov_b32_e32 v20, -1
	s_and_saveexec_b64 s[10:11], s[8:9]
	s_cbranch_execz .LBB12_11
; %bb.10:
	global_load_ushort v20, v[4:5], off offset:512
.LBB12_11:
	s_or_b64 exec, exec, s[10:11]
	v_add_u32_e32 v7, 0x140, v7
	v_cmp_gt_u32_e64 s[10:11], s50, v7
	s_and_saveexec_b64 s[12:13], s[10:11]
	s_cbranch_execz .LBB12_13
; %bb.12:
	global_load_ushort v15, v[4:5], off offset:640
.LBB12_13:
	s_or_b64 exec, exec, s[12:13]
	s_load_dword s12, s[0:1], 0x5c
	s_load_dword s3, s[0:1], 0x50
	s_add_u32 s13, s0, 0x50
	s_addc_u32 s14, s1, 0
	v_mov_b32_e32 v5, 0
	s_waitcnt lgkmcnt(0)
	s_lshr_b32 s15, s12, 16
	s_cmp_lt_u32 s2, s3
	s_cselect_b32 s12, 12, 18
	s_add_u32 s12, s13, s12
	s_addc_u32 s13, s14, 0
	global_load_ushort v10, v5, s[12:13]
	v_mov_b32_e32 v12, 0x7fff
	s_waitcnt vmcnt(1)
	v_cmp_gt_i16_e64 s[12:13], 0, v6
	s_movk_i32 s28, 0x8000
	v_bfe_u32 v4, v0, 10, 10
	v_cndmask_b32_e64 v9, v12, 0, s[12:13]
	v_xor_b32_e32 v9, v9, v6
	v_cmp_ne_u16_e64 s[12:13], s28, v9
	v_bfe_u32 v7, v0, 20, 10
	v_mad_u32_u24 v13, v7, s15, v4
	v_cndmask_b32_e64 v6, v12, v9, s[12:13]
	s_lshl_b32 s12, -1, s49
	v_lshrrev_b32_sdwa v6, s48, v6 dst_sel:DWORD dst_unused:UNUSED_PAD src0_sel:DWORD src1_sel:WORD_0
	s_not_b32 s33, s12
	v_and_b32_e32 v19, s33, v6
	v_and_b32_e32 v4, 1, v19
	v_lshlrev_b32_e32 v17, 30, v19
	v_mov_b32_e32 v16, v5
	v_lshlrev_b32_e32 v25, 29, v19
	v_lshl_add_u64 v[6:7], v[4:5], 0, -1
	v_cmp_ne_u32_e64 s[12:13], 0, v4
	v_not_b32_e32 v4, v17
	v_mov_b32_e32 v24, v5
	v_lshlrev_b32_e32 v27, 28, v19
	v_cmp_gt_i64_e64 s[14:15], 0, v[16:17]
	v_not_b32_e32 v16, v25
	v_xor_b32_e32 v7, s13, v7
	v_ashrrev_i32_e32 v4, 31, v4
	v_mov_b32_e32 v26, v5
	v_lshlrev_b32_e32 v29, 27, v19
	v_cmp_gt_i64_e64 s[16:17], 0, v[24:25]
	v_not_b32_e32 v17, v27
	v_xor_b32_e32 v6, s12, v6
	v_ashrrev_i32_e32 v16, 31, v16
	v_and_b32_e32 v7, exec_hi, v7
	v_xor_b32_e32 v25, s15, v4
	v_mov_b32_e32 v28, v5
	v_lshlrev_b32_e32 v31, 26, v19
	v_cmp_gt_i64_e64 s[18:19], 0, v[26:27]
	v_not_b32_e32 v22, v29
	v_ashrrev_i32_e32 v17, 31, v17
	v_and_b32_e32 v6, exec_lo, v6
	v_xor_b32_e32 v4, s14, v4
	v_xor_b32_e32 v26, s17, v16
	v_and_b32_e32 v7, v7, v25
	v_mov_b32_e32 v30, v5
	v_cmp_gt_i64_e64 s[20:21], 0, v[28:29]
	v_not_b32_e32 v24, v31
	v_ashrrev_i32_e32 v22, 31, v22
	v_xor_b32_e32 v16, s16, v16
	v_xor_b32_e32 v27, s19, v17
	v_and_b32_e32 v4, v6, v4
	v_and_b32_e32 v6, v7, v26
	v_cmp_gt_i64_e64 s[22:23], 0, v[30:31]
	v_ashrrev_i32_e32 v24, 31, v24
	v_xor_b32_e32 v17, s18, v17
	v_xor_b32_e32 v28, s21, v22
	v_and_b32_e32 v4, v4, v16
	v_and_b32_e32 v6, v6, v27
	v_xor_b32_e32 v22, s20, v22
	v_xor_b32_e32 v29, s23, v24
	v_and_b32_e32 v4, v4, v17
	v_and_b32_e32 v6, v6, v28
	v_lshlrev_b32_e32 v33, 25, v19
	v_xor_b32_e32 v24, s22, v24
	v_and_b32_e32 v4, v4, v22
	v_and_b32_e32 v16, v6, v29
	v_mov_b32_e32 v32, v5
	v_and_b32_e32 v4, v4, v24
	v_cmp_gt_i64_e64 s[24:25], 0, v[32:33]
	v_mul_u32_u24_e32 v8, 5, v2
	v_mul_u32_u24_e32 v21, 17, v19
	v_lshlrev_b32_e32 v8, 2, v8
	ds_write2_b32 v8, v5, v5 offset0:16 offset1:17
	ds_write2_b32 v8, v5, v5 offset0:18 offset1:19
	ds_write_b32 v8, v5 offset:80
	s_waitcnt lgkmcnt(0)
	s_barrier
	s_waitcnt lgkmcnt(0)
	; wave barrier
	s_waitcnt vmcnt(0)
	v_mad_u64_u32 v[6:7], s[12:13], v13, v10, v[2:3]
	v_lshrrev_b32_e32 v24, 6, v6
	v_not_b32_e32 v6, v33
	v_ashrrev_i32_e32 v6, 31, v6
	v_xor_b32_e32 v7, s25, v6
	v_xor_b32_e32 v6, s24, v6
	v_and_b32_e32 v10, v16, v7
	v_and_b32_e32 v4, v4, v6
	v_lshlrev_b32_e32 v7, 24, v19
	v_mov_b32_e32 v6, v5
	v_cmp_gt_i64_e64 s[12:13], 0, v[6:7]
	v_not_b32_e32 v6, v7
	v_ashrrev_i32_e32 v6, 31, v6
	v_xor_b32_e32 v7, s13, v6
	v_xor_b32_e32 v6, s12, v6
	v_and_b32_e32 v6, v4, v6
	v_and_b32_e32 v7, v10, v7
	v_mbcnt_lo_u32_b32 v4, v6, 0
	v_mbcnt_hi_u32_b32 v10, v7, v4
	v_cmp_eq_u32_e64 s[12:13], 0, v10
	v_cmp_ne_u64_e64 s[14:15], 0, v[6:7]
	v_add_lshl_u32 v13, v24, v21, 2
	s_and_b64 s[14:15], s[14:15], s[12:13]
	s_and_saveexec_b64 s[12:13], s[14:15]
	s_cbranch_execz .LBB12_15
; %bb.14:
	v_bcnt_u32_b32 v4, v6, 0
	v_bcnt_u32_b32 v4, v7, v4
	ds_write_b32 v13, v4 offset:64
.LBB12_15:
	s_or_b64 exec, exec, s[12:13]
	v_cmp_gt_i16_e64 s[12:13], 0, v11
	; wave barrier
	s_nop 1
	v_cndmask_b32_e64 v4, v12, 0, s[12:13]
	v_xor_b32_e32 v11, v4, v11
	v_cmp_ne_u16_e64 s[12:13], s28, v11
	s_nop 1
	v_cndmask_b32_e64 v4, v12, v11, s[12:13]
	v_lshrrev_b32_sdwa v4, s48, v4 dst_sel:DWORD dst_unused:UNUSED_PAD src0_sel:DWORD src1_sel:WORD_0
	v_and_b32_e32 v17, s33, v4
	v_mul_u32_u24_e32 v4, 17, v17
	v_add_lshl_u32 v16, v24, v4, 2
	v_and_b32_e32 v4, 1, v17
	v_lshl_add_u64 v[6:7], v[4:5], 0, -1
	v_cmp_ne_u32_e64 s[12:13], 0, v4
	ds_read_b32 v12, v16 offset:64
	s_nop 0
	v_xor_b32_e32 v6, s12, v6
	v_xor_b32_e32 v4, s13, v7
	v_and_b32_e32 v19, exec_lo, v6
	v_lshlrev_b32_e32 v7, 30, v17
	v_mov_b32_e32 v6, v5
	v_cmp_gt_i64_e64 s[12:13], 0, v[6:7]
	v_not_b32_e32 v6, v7
	v_ashrrev_i32_e32 v6, 31, v6
	v_and_b32_e32 v4, exec_hi, v4
	v_xor_b32_e32 v7, s13, v6
	v_xor_b32_e32 v6, s12, v6
	v_and_b32_e32 v4, v4, v7
	v_and_b32_e32 v19, v19, v6
	v_lshlrev_b32_e32 v7, 29, v17
	v_mov_b32_e32 v6, v5
	v_cmp_gt_i64_e64 s[12:13], 0, v[6:7]
	v_not_b32_e32 v6, v7
	v_ashrrev_i32_e32 v6, 31, v6
	v_xor_b32_e32 v7, s13, v6
	v_xor_b32_e32 v6, s12, v6
	v_and_b32_e32 v4, v4, v7
	v_and_b32_e32 v19, v19, v6
	v_lshlrev_b32_e32 v7, 28, v17
	v_mov_b32_e32 v6, v5
	v_cmp_gt_i64_e64 s[12:13], 0, v[6:7]
	v_not_b32_e32 v6, v7
	v_ashrrev_i32_e32 v6, 31, v6
	;; [unrolled: 9-line block ×5, first 2 shown]
	v_xor_b32_e32 v7, s13, v6
	v_xor_b32_e32 v6, s12, v6
	v_and_b32_e32 v4, v4, v7
	v_lshlrev_b32_e32 v7, 24, v17
	v_and_b32_e32 v19, v19, v6
	v_mov_b32_e32 v6, v5
	v_not_b32_e32 v5, v7
	v_cmp_gt_i64_e64 s[12:13], 0, v[6:7]
	v_ashrrev_i32_e32 v5, 31, v5
	; wave barrier
	s_nop 0
	v_xor_b32_e32 v6, s13, v5
	v_xor_b32_e32 v7, s12, v5
	v_and_b32_e32 v5, v4, v6
	v_and_b32_e32 v4, v19, v7
	v_mbcnt_lo_u32_b32 v6, v4, 0
	v_mbcnt_hi_u32_b32 v17, v5, v6
	v_cmp_eq_u32_e64 s[12:13], 0, v17
	v_cmp_ne_u64_e64 s[14:15], 0, v[4:5]
	s_and_b64 s[14:15], s[14:15], s[12:13]
	s_and_saveexec_b64 s[12:13], s[14:15]
	s_cbranch_execz .LBB12_17
; %bb.16:
	v_bcnt_u32_b32 v4, v4, 0
	v_bcnt_u32_b32 v4, v5, v4
	s_waitcnt lgkmcnt(0)
	v_add_u32_e32 v4, v12, v4
	ds_write_b32 v16, v4 offset:64
.LBB12_17:
	s_or_b64 exec, exec, s[12:13]
	v_mov_b32_e32 v25, 0x7fff
	v_cmp_gt_i16_e64 s[12:13], 0, v18
	s_movk_i32 s16, 0x8000
	v_mov_b32_e32 v5, 0
	v_cndmask_b32_e64 v4, v25, 0, s[12:13]
	v_xor_b32_e32 v18, v4, v18
	v_cmp_ne_u16_e64 s[12:13], s16, v18
	; wave barrier
	s_nop 1
	v_cndmask_b32_e64 v4, v25, v18, s[12:13]
	v_lshrrev_b32_sdwa v4, s48, v4 dst_sel:DWORD dst_unused:UNUSED_PAD src0_sel:DWORD src1_sel:WORD_0
	v_and_b32_e32 v22, s33, v4
	v_mul_u32_u24_e32 v4, 17, v22
	v_add_lshl_u32 v21, v24, v4, 2
	v_and_b32_e32 v4, 1, v22
	v_lshl_add_u64 v[6:7], v[4:5], 0, -1
	v_cmp_ne_u32_e64 s[12:13], 0, v4
	ds_read_b32 v19, v21 offset:64
	s_nop 0
	v_xor_b32_e32 v6, s12, v6
	v_xor_b32_e32 v4, s13, v7
	v_and_b32_e32 v26, exec_lo, v6
	v_lshlrev_b32_e32 v7, 30, v22
	v_mov_b32_e32 v6, v5
	v_cmp_gt_i64_e64 s[12:13], 0, v[6:7]
	v_not_b32_e32 v6, v7
	v_ashrrev_i32_e32 v6, 31, v6
	v_and_b32_e32 v4, exec_hi, v4
	v_xor_b32_e32 v7, s13, v6
	v_xor_b32_e32 v6, s12, v6
	v_and_b32_e32 v4, v4, v7
	v_and_b32_e32 v26, v26, v6
	v_lshlrev_b32_e32 v7, 29, v22
	v_mov_b32_e32 v6, v5
	v_cmp_gt_i64_e64 s[12:13], 0, v[6:7]
	v_not_b32_e32 v6, v7
	v_ashrrev_i32_e32 v6, 31, v6
	v_xor_b32_e32 v7, s13, v6
	v_xor_b32_e32 v6, s12, v6
	v_and_b32_e32 v4, v4, v7
	v_and_b32_e32 v26, v26, v6
	v_lshlrev_b32_e32 v7, 28, v22
	v_mov_b32_e32 v6, v5
	v_cmp_gt_i64_e64 s[12:13], 0, v[6:7]
	v_not_b32_e32 v6, v7
	v_ashrrev_i32_e32 v6, 31, v6
	;; [unrolled: 9-line block ×6, first 2 shown]
	v_xor_b32_e32 v7, s13, v6
	v_xor_b32_e32 v6, s12, v6
	v_and_b32_e32 v6, v26, v6
	v_and_b32_e32 v7, v4, v7
	v_mbcnt_lo_u32_b32 v4, v6, 0
	v_mbcnt_hi_u32_b32 v22, v7, v4
	v_cmp_eq_u32_e64 s[12:13], 0, v22
	v_cmp_ne_u64_e64 s[14:15], 0, v[6:7]
	s_and_b64 s[14:15], s[14:15], s[12:13]
	; wave barrier
	s_and_saveexec_b64 s[12:13], s[14:15]
	s_cbranch_execz .LBB12_19
; %bb.18:
	v_bcnt_u32_b32 v4, v6, 0
	v_bcnt_u32_b32 v4, v7, v4
	s_waitcnt lgkmcnt(0)
	v_add_u32_e32 v4, v19, v4
	ds_write_b32 v21, v4 offset:64
.LBB12_19:
	s_or_b64 exec, exec, s[12:13]
	v_cmp_gt_i16_e64 s[12:13], 0, v23
	; wave barrier
	s_nop 1
	v_cndmask_b32_e64 v4, v25, 0, s[12:13]
	v_xor_b32_e32 v23, v4, v23
	v_cmp_ne_u16_e64 s[12:13], s16, v23
	s_nop 1
	v_cndmask_b32_e64 v4, v25, v23, s[12:13]
	v_lshrrev_b32_sdwa v4, s48, v4 dst_sel:DWORD dst_unused:UNUSED_PAD src0_sel:DWORD src1_sel:WORD_0
	v_and_b32_e32 v27, s33, v4
	v_mul_u32_u24_e32 v4, 17, v27
	v_add_lshl_u32 v26, v24, v4, 2
	v_and_b32_e32 v4, 1, v27
	v_lshl_add_u64 v[6:7], v[4:5], 0, -1
	v_cmp_ne_u32_e64 s[12:13], 0, v4
	ds_read_b32 v25, v26 offset:64
	s_nop 0
	v_xor_b32_e32 v6, s12, v6
	v_xor_b32_e32 v4, s13, v7
	v_and_b32_e32 v28, exec_lo, v6
	v_lshlrev_b32_e32 v7, 30, v27
	v_mov_b32_e32 v6, v5
	v_cmp_gt_i64_e64 s[12:13], 0, v[6:7]
	v_not_b32_e32 v6, v7
	v_ashrrev_i32_e32 v6, 31, v6
	v_and_b32_e32 v4, exec_hi, v4
	v_xor_b32_e32 v7, s13, v6
	v_xor_b32_e32 v6, s12, v6
	v_and_b32_e32 v4, v4, v7
	v_and_b32_e32 v28, v28, v6
	v_lshlrev_b32_e32 v7, 29, v27
	v_mov_b32_e32 v6, v5
	v_cmp_gt_i64_e64 s[12:13], 0, v[6:7]
	v_not_b32_e32 v6, v7
	v_ashrrev_i32_e32 v6, 31, v6
	v_xor_b32_e32 v7, s13, v6
	v_xor_b32_e32 v6, s12, v6
	v_and_b32_e32 v4, v4, v7
	v_and_b32_e32 v28, v28, v6
	v_lshlrev_b32_e32 v7, 28, v27
	v_mov_b32_e32 v6, v5
	v_cmp_gt_i64_e64 s[12:13], 0, v[6:7]
	v_not_b32_e32 v6, v7
	v_ashrrev_i32_e32 v6, 31, v6
	;; [unrolled: 9-line block ×5, first 2 shown]
	v_xor_b32_e32 v7, s13, v6
	v_xor_b32_e32 v6, s12, v6
	v_and_b32_e32 v4, v4, v7
	v_lshlrev_b32_e32 v7, 24, v27
	v_and_b32_e32 v28, v28, v6
	v_mov_b32_e32 v6, v5
	v_not_b32_e32 v5, v7
	v_cmp_gt_i64_e64 s[12:13], 0, v[6:7]
	v_ashrrev_i32_e32 v5, 31, v5
	; wave barrier
	s_nop 0
	v_xor_b32_e32 v6, s13, v5
	v_xor_b32_e32 v7, s12, v5
	v_and_b32_e32 v5, v4, v6
	v_and_b32_e32 v4, v28, v7
	v_mbcnt_lo_u32_b32 v6, v4, 0
	v_mbcnt_hi_u32_b32 v29, v5, v6
	v_cmp_eq_u32_e64 s[12:13], 0, v29
	v_cmp_ne_u64_e64 s[14:15], 0, v[4:5]
	s_and_b64 s[14:15], s[14:15], s[12:13]
	s_and_saveexec_b64 s[12:13], s[14:15]
	s_cbranch_execz .LBB12_21
; %bb.20:
	v_bcnt_u32_b32 v4, v4, 0
	v_bcnt_u32_b32 v4, v5, v4
	s_waitcnt lgkmcnt(0)
	v_add_u32_e32 v4, v25, v4
	ds_write_b32 v26, v4 offset:64
.LBB12_21:
	s_or_b64 exec, exec, s[12:13]
	v_mov_b32_e32 v32, 0x7fff
	v_cmp_gt_i16_e64 s[12:13], 0, v20
	v_mov_b32_e32 v5, 0
	s_nop 0
	v_cndmask_b32_e64 v4, v32, 0, s[12:13]
	v_xor_b32_e32 v20, v4, v20
	v_cmp_ne_u16_e64 s[12:13], s16, v20
	; wave barrier
	s_nop 1
	v_cndmask_b32_e64 v4, v32, v20, s[12:13]
	v_lshrrev_b32_sdwa v4, s48, v4 dst_sel:DWORD dst_unused:UNUSED_PAD src0_sel:DWORD src1_sel:WORD_0
	v_and_b32_e32 v28, s33, v4
	v_mul_u32_u24_e32 v4, 17, v28
	v_add_lshl_u32 v27, v24, v4, 2
	v_and_b32_e32 v4, 1, v28
	v_lshl_add_u64 v[6:7], v[4:5], 0, -1
	v_cmp_ne_u32_e64 s[12:13], 0, v4
	ds_read_b32 v30, v27 offset:64
	s_nop 0
	v_xor_b32_e32 v6, s12, v6
	v_xor_b32_e32 v4, s13, v7
	v_and_b32_e32 v31, exec_lo, v6
	v_lshlrev_b32_e32 v7, 30, v28
	v_mov_b32_e32 v6, v5
	v_cmp_gt_i64_e64 s[12:13], 0, v[6:7]
	v_not_b32_e32 v6, v7
	v_ashrrev_i32_e32 v6, 31, v6
	v_and_b32_e32 v4, exec_hi, v4
	v_xor_b32_e32 v7, s13, v6
	v_xor_b32_e32 v6, s12, v6
	v_and_b32_e32 v4, v4, v7
	v_and_b32_e32 v31, v31, v6
	v_lshlrev_b32_e32 v7, 29, v28
	v_mov_b32_e32 v6, v5
	v_cmp_gt_i64_e64 s[12:13], 0, v[6:7]
	v_not_b32_e32 v6, v7
	v_ashrrev_i32_e32 v6, 31, v6
	v_xor_b32_e32 v7, s13, v6
	v_xor_b32_e32 v6, s12, v6
	v_and_b32_e32 v4, v4, v7
	v_and_b32_e32 v31, v31, v6
	v_lshlrev_b32_e32 v7, 28, v28
	v_mov_b32_e32 v6, v5
	v_cmp_gt_i64_e64 s[12:13], 0, v[6:7]
	v_not_b32_e32 v6, v7
	v_ashrrev_i32_e32 v6, 31, v6
	;; [unrolled: 9-line block ×6, first 2 shown]
	v_xor_b32_e32 v7, s13, v6
	v_xor_b32_e32 v6, s12, v6
	v_and_b32_e32 v6, v31, v6
	v_and_b32_e32 v7, v4, v7
	v_mbcnt_lo_u32_b32 v4, v6, 0
	v_mbcnt_hi_u32_b32 v31, v7, v4
	v_cmp_eq_u32_e64 s[12:13], 0, v31
	v_cmp_ne_u64_e64 s[14:15], 0, v[6:7]
	s_and_b64 s[14:15], s[14:15], s[12:13]
	; wave barrier
	s_and_saveexec_b64 s[12:13], s[14:15]
	s_cbranch_execz .LBB12_23
; %bb.22:
	v_bcnt_u32_b32 v4, v6, 0
	v_bcnt_u32_b32 v4, v7, v4
	s_waitcnt lgkmcnt(0)
	v_add_u32_e32 v4, v30, v4
	ds_write_b32 v27, v4 offset:64
.LBB12_23:
	s_or_b64 exec, exec, s[12:13]
	v_cmp_gt_i16_e64 s[12:13], 0, v15
	; wave barrier
	s_nop 1
	v_cndmask_b32_e64 v4, v32, 0, s[12:13]
	v_xor_b32_e32 v15, v4, v15
	v_cmp_ne_u16_e64 s[12:13], s16, v15
	v_add_u32_e32 v28, 64, v8
	s_nop 0
	v_cndmask_b32_e64 v4, v32, v15, s[12:13]
	v_lshrrev_b32_sdwa v4, s48, v4 dst_sel:DWORD dst_unused:UNUSED_PAD src0_sel:DWORD src1_sel:WORD_0
	v_and_b32_e32 v33, s33, v4
	v_mul_u32_u24_e32 v4, 17, v33
	v_add_lshl_u32 v24, v4, v24, 2
	v_and_b32_e32 v4, 1, v33
	v_lshl_add_u64 v[6:7], v[4:5], 0, -1
	v_cmp_ne_u32_e64 s[12:13], 0, v4
	ds_read_b32 v32, v24 offset:64
	s_nop 0
	v_xor_b32_e32 v6, s12, v6
	v_xor_b32_e32 v4, s13, v7
	v_and_b32_e32 v34, exec_lo, v6
	v_lshlrev_b32_e32 v7, 30, v33
	v_mov_b32_e32 v6, v5
	v_cmp_gt_i64_e64 s[12:13], 0, v[6:7]
	v_not_b32_e32 v6, v7
	v_ashrrev_i32_e32 v6, 31, v6
	v_and_b32_e32 v4, exec_hi, v4
	v_xor_b32_e32 v7, s13, v6
	v_xor_b32_e32 v6, s12, v6
	v_and_b32_e32 v4, v4, v7
	v_and_b32_e32 v34, v34, v6
	v_lshlrev_b32_e32 v7, 29, v33
	v_mov_b32_e32 v6, v5
	v_cmp_gt_i64_e64 s[12:13], 0, v[6:7]
	v_not_b32_e32 v6, v7
	v_ashrrev_i32_e32 v6, 31, v6
	v_xor_b32_e32 v7, s13, v6
	v_xor_b32_e32 v6, s12, v6
	v_and_b32_e32 v4, v4, v7
	v_and_b32_e32 v34, v34, v6
	v_lshlrev_b32_e32 v7, 28, v33
	v_mov_b32_e32 v6, v5
	v_cmp_gt_i64_e64 s[12:13], 0, v[6:7]
	v_not_b32_e32 v6, v7
	v_ashrrev_i32_e32 v6, 31, v6
	v_xor_b32_e32 v7, s13, v6
	v_xor_b32_e32 v6, s12, v6
	v_and_b32_e32 v4, v4, v7
	v_and_b32_e32 v34, v34, v6
	v_lshlrev_b32_e32 v7, 27, v33
	v_mov_b32_e32 v6, v5
	v_cmp_gt_i64_e64 s[12:13], 0, v[6:7]
	v_not_b32_e32 v6, v7
	v_ashrrev_i32_e32 v6, 31, v6
	v_xor_b32_e32 v7, s13, v6
	v_xor_b32_e32 v6, s12, v6
	v_and_b32_e32 v4, v4, v7
	v_and_b32_e32 v34, v34, v6
	v_lshlrev_b32_e32 v7, 26, v33
	v_mov_b32_e32 v6, v5
	v_cmp_gt_i64_e64 s[12:13], 0, v[6:7]
	v_not_b32_e32 v6, v7
	v_ashrrev_i32_e32 v6, 31, v6
	v_xor_b32_e32 v7, s13, v6
	v_xor_b32_e32 v6, s12, v6
	v_and_b32_e32 v4, v4, v7
	v_and_b32_e32 v34, v34, v6
	v_lshlrev_b32_e32 v7, 25, v33
	v_mov_b32_e32 v6, v5
	v_cmp_gt_i64_e64 s[12:13], 0, v[6:7]
	v_not_b32_e32 v6, v7
	v_ashrrev_i32_e32 v6, 31, v6
	v_xor_b32_e32 v7, s13, v6
	v_xor_b32_e32 v6, s12, v6
	v_and_b32_e32 v4, v4, v7
	v_lshlrev_b32_e32 v7, 24, v33
	v_and_b32_e32 v34, v34, v6
	v_mov_b32_e32 v6, v5
	v_not_b32_e32 v5, v7
	v_cmp_gt_i64_e64 s[12:13], 0, v[6:7]
	v_ashrrev_i32_e32 v5, 31, v5
	; wave barrier
	s_nop 0
	v_xor_b32_e32 v6, s13, v5
	v_xor_b32_e32 v7, s12, v5
	v_and_b32_e32 v5, v4, v6
	v_and_b32_e32 v4, v34, v7
	v_mbcnt_lo_u32_b32 v6, v4, 0
	v_mbcnt_hi_u32_b32 v33, v5, v6
	v_cmp_eq_u32_e64 s[12:13], 0, v33
	v_cmp_ne_u64_e64 s[14:15], 0, v[4:5]
	s_and_b64 s[14:15], s[14:15], s[12:13]
	s_and_saveexec_b64 s[12:13], s[14:15]
	s_cbranch_execz .LBB12_25
; %bb.24:
	v_bcnt_u32_b32 v4, v4, 0
	v_bcnt_u32_b32 v4, v5, v4
	s_waitcnt lgkmcnt(0)
	v_add_u32_e32 v4, v32, v4
	ds_write_b32 v24, v4 offset:64
.LBB12_25:
	s_or_b64 exec, exec, s[12:13]
	; wave barrier
	s_waitcnt lgkmcnt(0)
	s_barrier
	ds_read2_b32 v[6:7], v8 offset0:16 offset1:17
	ds_read2_b32 v[4:5], v28 offset0:2 offset1:3
	ds_read_b32 v34, v28 offset:16
	v_cmp_lt_u32_e64 s[20:21], 31, v14
	s_waitcnt lgkmcnt(1)
	v_add3_u32 v35, v7, v6, v4
	s_waitcnt lgkmcnt(0)
	v_add3_u32 v34, v35, v5, v34
	v_and_b32_e32 v35, 15, v14
	v_cmp_eq_u32_e64 s[12:13], 0, v35
	v_mov_b32_dpp v36, v34 row_shr:1 row_mask:0xf bank_mask:0xf
	v_cmp_lt_u32_e64 s[14:15], 1, v35
	v_cndmask_b32_e64 v36, v36, 0, s[12:13]
	v_add_u32_e32 v34, v36, v34
	v_cmp_lt_u32_e64 s[16:17], 3, v35
	v_cmp_lt_u32_e64 s[18:19], 7, v35
	v_mov_b32_dpp v36, v34 row_shr:2 row_mask:0xf bank_mask:0xf
	v_cndmask_b32_e64 v36, 0, v36, s[14:15]
	v_add_u32_e32 v34, v34, v36
	s_nop 1
	v_mov_b32_dpp v36, v34 row_shr:4 row_mask:0xf bank_mask:0xf
	v_cndmask_b32_e64 v36, 0, v36, s[16:17]
	v_add_u32_e32 v34, v34, v36
	s_nop 1
	v_mov_b32_dpp v36, v34 row_shr:8 row_mask:0xf bank_mask:0xf
	v_cndmask_b32_e64 v35, 0, v36, s[18:19]
	v_add_u32_e32 v34, v34, v35
	v_bfe_i32 v36, v14, 4, 1
	s_nop 0
	v_mov_b32_dpp v35, v34 row_bcast:15 row_mask:0xf bank_mask:0xf
	v_and_b32_e32 v35, v36, v35
	v_add_u32_e32 v34, v34, v35
	v_and_b32_e32 v36, 63, v2
	s_nop 0
	v_mov_b32_dpp v35, v34 row_bcast:31 row_mask:0xf bank_mask:0xf
	v_cndmask_b32_e64 v35, 0, v35, s[20:21]
	v_add_u32_e32 v34, v34, v35
	v_lshrrev_b32_e32 v35, 6, v2
	v_cmp_eq_u32_e64 s[20:21], 63, v36
	s_and_saveexec_b64 s[22:23], s[20:21]
	s_cbranch_execz .LBB12_27
; %bb.26:
	v_lshlrev_b32_e32 v36, 2, v35
	ds_write_b32 v36, v34
.LBB12_27:
	s_or_b64 exec, exec, s[22:23]
	v_cmp_gt_u32_e64 s[20:21], 16, v2
	s_waitcnt lgkmcnt(0)
	s_barrier
	s_and_saveexec_b64 s[22:23], s[20:21]
	s_cbranch_execz .LBB12_29
; %bb.28:
	v_lshlrev_b32_e32 v36, 2, v2
	ds_read_b32 v37, v36
	s_waitcnt lgkmcnt(0)
	s_nop 0
	v_mov_b32_dpp v38, v37 row_shr:1 row_mask:0xf bank_mask:0xf
	v_cndmask_b32_e64 v38, v38, 0, s[12:13]
	v_add_u32_e32 v37, v38, v37
	s_nop 1
	v_mov_b32_dpp v38, v37 row_shr:2 row_mask:0xf bank_mask:0xf
	v_cndmask_b32_e64 v38, 0, v38, s[14:15]
	v_add_u32_e32 v37, v37, v38
	;; [unrolled: 4-line block ×4, first 2 shown]
	ds_write_b32 v36, v37
.LBB12_29:
	s_or_b64 exec, exec, s[22:23]
	v_cmp_lt_u32_e64 s[12:13], 63, v2
	v_mov_b32_e32 v36, 0
	s_waitcnt lgkmcnt(0)
	s_barrier
	s_and_saveexec_b64 s[14:15], s[12:13]
	s_cbranch_execz .LBB12_31
; %bb.30:
	v_lshl_add_u32 v35, v35, 2, -4
	ds_read_b32 v36, v35
.LBB12_31:
	s_or_b64 exec, exec, s[14:15]
	v_add_u32_e32 v35, -1, v14
	v_and_b32_e32 v37, 64, v14
	v_cmp_lt_i32_e64 s[12:13], v35, v37
	s_waitcnt lgkmcnt(0)
	v_add_u32_e32 v34, v36, v34
	v_cndmask_b32_e64 v35, v35, v14, s[12:13]
	v_lshlrev_b32_e32 v35, 2, v35
	ds_bpermute_b32 v34, v35, v34
	v_cmp_eq_u32_e64 s[12:13], 0, v14
	s_waitcnt lgkmcnt(0)
	s_nop 0
	v_cndmask_b32_e64 v34, v34, v36, s[12:13]
	v_cmp_ne_u32_e64 s[12:13], 0, v2
	s_nop 1
	v_cndmask_b32_e64 v34, 0, v34, s[12:13]
	v_add_u32_e32 v6, v34, v6
	v_add_u32_e32 v7, v6, v7
	;; [unrolled: 1-line block ×4, first 2 shown]
	ds_write2_b32 v8, v34, v6 offset0:16 offset1:17
	ds_write2_b32 v28, v7, v4 offset0:2 offset1:3
	ds_write_b32 v28, v5 offset:16
	s_waitcnt lgkmcnt(0)
	s_barrier
	ds_read_b32 v7, v13 offset:64
	ds_read_b32 v8, v16 offset:64
	;; [unrolled: 1-line block ×6, first 2 shown]
	s_movk_i32 s12, 0x100
	v_cmp_gt_u32_e64 s[12:13], s12, v2
	v_mov_b64_e32 v[4:5], 0
                                        ; implicit-def: $vgpr6
	s_and_saveexec_b64 s[16:17], s[12:13]
	s_cbranch_execz .LBB12_35
; %bb.32:
	v_mul_u32_u24_e32 v4, 17, v2
	v_lshlrev_b32_e32 v6, 2, v4
	ds_read_b32 v4, v6 offset:64
	s_movk_i32 s14, 0xff
	v_cmp_ne_u32_e64 s[14:15], s14, v2
	v_mov_b32_e32 v5, 0x1800
	s_and_saveexec_b64 s[18:19], s[14:15]
	s_cbranch_execz .LBB12_34
; %bb.33:
	ds_read_b32 v5, v6 offset:132
.LBB12_34:
	s_or_b64 exec, exec, s[18:19]
	s_waitcnt lgkmcnt(0)
	v_sub_u32_e32 v6, v5, v4
	v_mov_b32_e32 v5, 0
.LBB12_35:
	s_or_b64 exec, exec, s[16:17]
	s_waitcnt lgkmcnt(5)
	v_add_u32_e32 v28, v7, v10
	s_waitcnt lgkmcnt(4)
	v_add3_u32 v27, v17, v12, v8
	v_lshlrev_b32_e32 v8, 1, v28
	s_waitcnt lgkmcnt(3)
	v_add3_u32 v26, v22, v19, v13
	s_waitcnt lgkmcnt(0)
	s_barrier
	ds_write_b16 v8, v9 offset:2048
	v_lshlrev_b32_e32 v8, 1, v27
	v_add3_u32 v25, v29, v25, v16
	ds_write_b16 v8, v11 offset:2048
	v_lshlrev_b32_e32 v8, 1, v26
	v_add3_u32 v24, v31, v30, v21
	;; [unrolled: 3-line block ×3, first 2 shown]
	ds_write_b16 v8, v23 offset:2048
	v_lshlrev_b32_e32 v8, 1, v24
	ds_write_b16 v8, v20 offset:2048
	v_lshlrev_b32_e32 v8, 1, v7
	ds_write_b16 v8, v15 offset:2048
	s_waitcnt lgkmcnt(0)
	s_barrier
	s_and_saveexec_b64 s[16:17], s[12:13]
	s_cbranch_execz .LBB12_45
; %bb.36:
	v_lshl_or_b32 v10, s2, 8, v2
	v_mov_b32_e32 v11, 0
	v_lshl_add_u64 v[8:9], v[10:11], 2, s[34:35]
	v_or_b32_e32 v10, 2.0, v6
	s_mov_b64 s[18:19], 0
	s_brev_b32 s24, 1
	s_mov_b32 s25, s2
	v_mov_b32_e32 v15, 0
	global_store_dword v[8:9], v10, off sc1
                                        ; implicit-def: $sgpr14_sgpr15
	s_branch .LBB12_38
.LBB12_37:                              ;   in Loop: Header=BB12_38 Depth=1
	s_or_b64 exec, exec, s[20:21]
	v_and_b32_e32 v12, 0x3fffffff, v16
	v_add_u32_e32 v15, v12, v15
	v_cmp_eq_u32_e64 s[14:15], s24, v10
	s_and_b64 s[20:21], exec, s[14:15]
	s_or_b64 s[18:19], s[20:21], s[18:19]
	s_andn2_b64 exec, exec, s[18:19]
	s_cbranch_execz .LBB12_44
.LBB12_38:                              ; =>This Loop Header: Depth=1
                                        ;     Child Loop BB12_41 Depth 2
	s_or_b64 s[14:15], s[14:15], exec
	s_cmp_eq_u32 s25, 0
	s_cbranch_scc1 .LBB12_43
; %bb.39:                               ;   in Loop: Header=BB12_38 Depth=1
	s_add_i32 s25, s25, -1
	v_lshl_or_b32 v10, s25, 8, v2
	v_lshl_add_u64 v[12:13], v[10:11], 2, s[34:35]
	global_load_dword v16, v[12:13], off sc1
	s_waitcnt vmcnt(0)
	v_and_b32_e32 v10, -2.0, v16
	v_cmp_eq_u32_e64 s[14:15], 0, v10
	s_and_saveexec_b64 s[20:21], s[14:15]
	s_cbranch_execz .LBB12_37
; %bb.40:                               ;   in Loop: Header=BB12_38 Depth=1
	s_mov_b64 s[22:23], 0
.LBB12_41:                              ;   Parent Loop BB12_38 Depth=1
                                        ; =>  This Inner Loop Header: Depth=2
	global_load_dword v16, v[12:13], off sc1
	s_waitcnt vmcnt(0)
	v_and_b32_e32 v10, -2.0, v16
	v_cmp_ne_u32_e64 s[14:15], 0, v10
	s_or_b64 s[22:23], s[14:15], s[22:23]
	s_andn2_b64 exec, exec, s[22:23]
	s_cbranch_execnz .LBB12_41
; %bb.42:                               ;   in Loop: Header=BB12_38 Depth=1
	s_or_b64 exec, exec, s[22:23]
	s_branch .LBB12_37
.LBB12_43:                              ;   in Loop: Header=BB12_38 Depth=1
                                        ; implicit-def: $sgpr25
	s_and_b64 s[20:21], exec, s[14:15]
	s_or_b64 s[18:19], s[20:21], s[18:19]
	s_andn2_b64 exec, exec, s[18:19]
	s_cbranch_execnz .LBB12_38
.LBB12_44:
	s_or_b64 exec, exec, s[18:19]
	v_add_u32_e32 v10, v15, v6
	v_or_b32_e32 v10, 0x80000000, v10
	global_store_dword v[8:9], v10, off sc1
	v_lshlrev_b32_e32 v12, 3, v2
	global_load_dwordx2 v[8:9], v12, s[44:45]
	v_sub_co_u32_e64 v10, s[14:15], v15, v4
	s_nop 1
	v_subb_co_u32_e64 v11, s[14:15], 0, v5, s[14:15]
	s_waitcnt vmcnt(0)
	v_lshl_add_u64 v[8:9], v[10:11], 0, v[8:9]
	ds_write_b64 v12, v[8:9]
.LBB12_45:
	s_or_b64 exec, exec, s[16:17]
	v_cmp_gt_u32_e64 s[14:15], s50, v2
	v_lshlrev_b32_e32 v8, 1, v2
	s_waitcnt lgkmcnt(0)
	s_barrier
	s_and_saveexec_b64 s[18:19], s[14:15]
	s_cbranch_execz .LBB12_47
; %bb.46:
	ds_read_u16 v9, v8 offset:2048
	s_movk_i32 s16, 0x8000
	v_mov_b32_e32 v12, 0x7fff
	s_waitcnt lgkmcnt(0)
	v_cmp_ne_u16_e64 s[16:17], s16, v9
	s_nop 1
	v_cndmask_b32_e64 v10, v12, v9, s[16:17]
	v_lshrrev_b32_sdwa v10, s48, v10 dst_sel:DWORD dst_unused:UNUSED_PAD src0_sel:DWORD src1_sel:WORD_0
	v_and_b32_e32 v10, s33, v10
	v_lshlrev_b32_e32 v10, 3, v10
	ds_read_b64 v[10:11], v10
	v_cmp_gt_i16_e64 s[16:17], 0, v9
	s_waitcnt lgkmcnt(0)
	v_lshl_add_u64 v[10:11], v[10:11], 1, s[38:39]
	v_cndmask_b32_e64 v12, v12, 0, s[16:17]
	v_xor_b32_e32 v12, v12, v9
	v_mov_b32_e32 v9, 0
	v_lshl_add_u64 v[10:11], v[10:11], 0, v[8:9]
	global_store_short v[10:11], v12, off
.LBB12_47:
	s_or_b64 exec, exec, s[18:19]
	v_or_b32_e32 v29, 0x400, v2
	v_cmp_gt_u32_e64 s[16:17], s50, v29
	s_and_saveexec_b64 s[20:21], s[16:17]
	s_cbranch_execz .LBB12_49
; %bb.48:
	ds_read_u16 v9, v8 offset:4096
	s_movk_i32 s18, 0x8000
	v_mov_b32_e32 v12, 0x7fff
	s_waitcnt lgkmcnt(0)
	v_cmp_ne_u16_e64 s[18:19], s18, v9
	s_nop 1
	v_cndmask_b32_e64 v10, v12, v9, s[18:19]
	v_lshrrev_b32_sdwa v10, s48, v10 dst_sel:DWORD dst_unused:UNUSED_PAD src0_sel:DWORD src1_sel:WORD_0
	v_and_b32_e32 v10, s33, v10
	v_lshlrev_b32_e32 v10, 3, v10
	ds_read_b64 v[10:11], v10
	v_cmp_gt_i16_e64 s[18:19], 0, v9
	s_waitcnt lgkmcnt(0)
	v_lshl_add_u64 v[10:11], v[10:11], 1, s[38:39]
	v_cndmask_b32_e64 v12, v12, 0, s[18:19]
	v_xor_b32_e32 v12, v12, v9
	v_mov_b32_e32 v9, 0
	v_lshl_add_u64 v[10:11], v[10:11], 0, v[8:9]
	global_store_short v[10:11], v12, off offset:2048
.LBB12_49:
	s_or_b64 exec, exec, s[20:21]
	v_or_b32_e32 v30, 0x800, v2
	v_cmp_gt_u32_e64 s[18:19], s50, v30
	s_and_saveexec_b64 s[22:23], s[18:19]
	s_cbranch_execz .LBB12_51
; %bb.50:
	ds_read_u16 v9, v8 offset:6144
	s_movk_i32 s20, 0x8000
	v_mov_b32_e32 v13, 0x7fff
	v_lshlrev_b32_e32 v12, 1, v30
	s_waitcnt lgkmcnt(0)
	v_cmp_ne_u16_e64 s[20:21], s20, v9
	s_nop 1
	v_cndmask_b32_e64 v10, v13, v9, s[20:21]
	v_lshrrev_b32_sdwa v10, s48, v10 dst_sel:DWORD dst_unused:UNUSED_PAD src0_sel:DWORD src1_sel:WORD_0
	v_and_b32_e32 v10, s33, v10
	v_lshlrev_b32_e32 v10, 3, v10
	ds_read_b64 v[10:11], v10
	v_cmp_gt_i16_e64 s[20:21], 0, v9
	s_waitcnt lgkmcnt(0)
	v_lshl_add_u64 v[10:11], v[10:11], 1, s[38:39]
	v_cndmask_b32_e64 v13, v13, 0, s[20:21]
	v_xor_b32_e32 v9, v13, v9
	v_mov_b32_e32 v13, 0
	v_lshl_add_u64 v[10:11], v[10:11], 0, v[12:13]
	global_store_short v[10:11], v9, off
.LBB12_51:
	s_or_b64 exec, exec, s[22:23]
	v_or_b32_e32 v31, 0xc00, v2
	v_cmp_gt_u32_e64 s[20:21], s50, v31
	s_and_saveexec_b64 s[24:25], s[20:21]
	s_cbranch_execz .LBB12_53
; %bb.52:
	ds_read_u16 v9, v8 offset:8192
	s_movk_i32 s22, 0x8000
	v_mov_b32_e32 v13, 0x7fff
	v_lshlrev_b32_e32 v12, 1, v31
	s_waitcnt lgkmcnt(0)
	v_cmp_ne_u16_e64 s[22:23], s22, v9
	s_nop 1
	v_cndmask_b32_e64 v10, v13, v9, s[22:23]
	v_lshrrev_b32_sdwa v10, s48, v10 dst_sel:DWORD dst_unused:UNUSED_PAD src0_sel:DWORD src1_sel:WORD_0
	v_and_b32_e32 v10, s33, v10
	v_lshlrev_b32_e32 v10, 3, v10
	ds_read_b64 v[10:11], v10
	v_cmp_gt_i16_e64 s[22:23], 0, v9
	s_waitcnt lgkmcnt(0)
	v_lshl_add_u64 v[10:11], v[10:11], 1, s[38:39]
	v_cndmask_b32_e64 v13, v13, 0, s[22:23]
	v_xor_b32_e32 v9, v13, v9
	v_mov_b32_e32 v13, 0
	v_lshl_add_u64 v[10:11], v[10:11], 0, v[12:13]
	global_store_short v[10:11], v9, off
.LBB12_53:
	;; [unrolled: 27-line block ×4, first 2 shown]
	s_or_b64 exec, exec, s[50:51]
	s_lshl_b64 s[28:29], s[30:31], 3
	s_add_u32 s28, s40, s28
	s_addc_u32 s29, s41, s29
	v_lshlrev_b32_e32 v10, 3, v14
	v_mov_b32_e32 v11, 0
	v_lshl_add_u64 v[12:13], s[28:29], 0, v[10:11]
	v_lshlrev_b32_e32 v10, 3, v3
	v_lshl_add_u64 v[22:23], v[12:13], 0, v[10:11]
                                        ; implicit-def: $vgpr10_vgpr11
	s_and_saveexec_b64 s[28:29], vcc
	s_xor_b64 s[28:29], exec, s[28:29]
	s_cbranch_execnz .LBB12_127
; %bb.58:
	s_or_b64 exec, exec, s[28:29]
                                        ; implicit-def: $vgpr12_vgpr13
	s_and_saveexec_b64 s[28:29], s[26:27]
	s_cbranch_execnz .LBB12_128
.LBB12_59:
	s_or_b64 exec, exec, s[28:29]
                                        ; implicit-def: $vgpr14_vgpr15
	s_and_saveexec_b64 s[26:27], s[4:5]
	s_cbranch_execnz .LBB12_129
.LBB12_60:
	s_or_b64 exec, exec, s[26:27]
                                        ; implicit-def: $vgpr16_vgpr17
	s_and_saveexec_b64 s[4:5], s[6:7]
	s_cbranch_execnz .LBB12_130
.LBB12_61:
	s_or_b64 exec, exec, s[4:5]
                                        ; implicit-def: $vgpr18_vgpr19
	s_and_saveexec_b64 s[4:5], s[8:9]
	s_cbranch_execnz .LBB12_131
.LBB12_62:
	s_or_b64 exec, exec, s[4:5]
                                        ; implicit-def: $vgpr20_vgpr21
	s_and_saveexec_b64 s[4:5], s[10:11]
	s_cbranch_execz .LBB12_64
.LBB12_63:
	global_load_dwordx2 v[20:21], v[22:23], off offset:2560
.LBB12_64:
	s_or_b64 exec, exec, s[4:5]
	v_mov_b32_e32 v23, 0
	v_mov_b32_e32 v9, 0
	s_and_saveexec_b64 s[4:5], s[14:15]
	s_cbranch_execz .LBB12_66
; %bb.65:
	ds_read_u16 v3, v8 offset:2048
	s_movk_i32 s6, 0x8000
	v_mov_b32_e32 v9, 0x7fff
	s_waitcnt lgkmcnt(0)
	v_cmp_ne_u16_e32 vcc, s6, v3
	s_nop 1
	v_cndmask_b32_e32 v3, v9, v3, vcc
	v_lshrrev_b32_sdwa v3, s48, v3 dst_sel:DWORD dst_unused:UNUSED_PAD src0_sel:DWORD src1_sel:WORD_0
	v_and_b32_e32 v9, s33, v3
.LBB12_66:
	s_or_b64 exec, exec, s[4:5]
	s_and_saveexec_b64 s[4:5], s[16:17]
	s_cbranch_execz .LBB12_68
; %bb.67:
	ds_read_u16 v3, v8 offset:4096
	s_movk_i32 s6, 0x8000
	v_mov_b32_e32 v22, 0x7fff
	s_waitcnt lgkmcnt(0)
	v_cmp_ne_u16_e32 vcc, s6, v3
	s_nop 1
	v_cndmask_b32_e32 v3, v22, v3, vcc
	v_lshrrev_b32_sdwa v3, s48, v3 dst_sel:DWORD dst_unused:UNUSED_PAD src0_sel:DWORD src1_sel:WORD_0
	v_and_b32_e32 v23, s33, v3
.LBB12_68:
	s_or_b64 exec, exec, s[4:5]
	v_mov_b32_e32 v22, 0
	v_mov_b32_e32 v35, 0
	s_and_saveexec_b64 s[4:5], s[18:19]
	s_cbranch_execz .LBB12_70
; %bb.69:
	ds_read_u16 v3, v8 offset:6144
	s_movk_i32 s6, 0x8000
	v_mov_b32_e32 v34, 0x7fff
	s_waitcnt lgkmcnt(0)
	v_cmp_ne_u16_e32 vcc, s6, v3
	s_nop 1
	v_cndmask_b32_e32 v3, v34, v3, vcc
	v_lshrrev_b32_sdwa v3, s48, v3 dst_sel:DWORD dst_unused:UNUSED_PAD src0_sel:DWORD src1_sel:WORD_0
	v_and_b32_e32 v35, s33, v3
.LBB12_70:
	s_or_b64 exec, exec, s[4:5]
	s_and_saveexec_b64 s[4:5], s[20:21]
	s_cbranch_execz .LBB12_72
; %bb.71:
	ds_read_u16 v3, v8 offset:8192
	s_movk_i32 s6, 0x8000
	v_mov_b32_e32 v22, 0x7fff
	s_waitcnt lgkmcnt(0)
	v_cmp_ne_u16_e32 vcc, s6, v3
	s_nop 1
	v_cndmask_b32_e32 v3, v22, v3, vcc
	v_lshrrev_b32_sdwa v3, s48, v3 dst_sel:DWORD dst_unused:UNUSED_PAD src0_sel:DWORD src1_sel:WORD_0
	v_and_b32_e32 v22, s33, v3
.LBB12_72:
	;; [unrolled: 30-line block ×3, first 2 shown]
	s_or_b64 exec, exec, s[4:5]
	v_lshlrev_b32_e32 v8, 3, v28
	s_barrier
	s_waitcnt vmcnt(0)
	ds_write_b64 v8, v[10:11] offset:2048
	v_lshlrev_b32_e32 v8, 3, v27
	ds_write_b64 v8, v[12:13] offset:2048
	v_lshlrev_b32_e32 v8, 3, v26
	;; [unrolled: 2-line block ×5, first 2 shown]
	v_lshlrev_b32_e32 v8, 3, v2
	ds_write_b64 v7, v[20:21] offset:2048
	s_waitcnt lgkmcnt(0)
	s_barrier
	s_and_saveexec_b64 s[4:5], s[14:15]
	s_cbranch_execnz .LBB12_132
; %bb.77:
	s_or_b64 exec, exec, s[4:5]
	s_and_saveexec_b64 s[4:5], s[16:17]
	s_cbranch_execnz .LBB12_133
.LBB12_78:
	s_or_b64 exec, exec, s[4:5]
	s_and_saveexec_b64 s[4:5], s[18:19]
	s_cbranch_execnz .LBB12_134
.LBB12_79:
	s_or_b64 exec, exec, s[4:5]
	s_and_saveexec_b64 s[4:5], s[20:21]
	s_cbranch_execnz .LBB12_135
.LBB12_80:
	s_or_b64 exec, exec, s[4:5]
	s_and_saveexec_b64 s[4:5], s[22:23]
	s_cbranch_execnz .LBB12_136
.LBB12_81:
	s_or_b64 exec, exec, s[4:5]
	s_and_saveexec_b64 s[4:5], s[24:25]
	s_cbranch_execz .LBB12_83
.LBB12_82:
	v_lshlrev_b32_e32 v3, 3, v3
	ds_read_b64 v[10:11], v3
	ds_read_b64 v[8:9], v8 offset:43008
	v_lshlrev_b32_e32 v12, 3, v33
	v_mov_b32_e32 v13, 0
	s_waitcnt lgkmcnt(1)
	v_lshl_add_u64 v[10:11], v[10:11], 3, s[42:43]
	v_lshl_add_u64 v[10:11], v[10:11], 0, v[12:13]
	s_waitcnt lgkmcnt(0)
	global_store_dwordx2 v[10:11], v[8:9], off
.LBB12_83:
	s_or_b64 exec, exec, s[4:5]
	s_add_i32 s3, s3, -1
	s_cmp_eq_u32 s2, s3
	s_cselect_b64 s[4:5], -1, 0
	s_and_b64 s[6:7], s[12:13], s[4:5]
	s_mov_b64 s[4:5], 0
	s_mov_b64 s[10:11], 0
                                        ; implicit-def: $vgpr8_vgpr9
	s_and_saveexec_b64 s[8:9], s[6:7]
	s_xor_b64 s[6:7], exec, s[8:9]
; %bb.84:
	v_mov_b32_e32 v7, 0
	s_mov_b64 s[10:11], exec
	v_lshl_add_u64 v[8:9], v[4:5], 0, v[6:7]
	v_mov_b32_e32 v3, v7
; %bb.85:
	s_or_b64 exec, exec, s[6:7]
	s_and_b64 vcc, exec, s[4:5]
	s_cbranch_vccnz .LBB12_87
	s_branch .LBB12_124
.LBB12_86:
	s_mov_b64 s[10:11], 0
                                        ; implicit-def: $vgpr8_vgpr9
                                        ; implicit-def: $vgpr2_vgpr3
	s_cbranch_execz .LBB12_124
.LBB12_87:
	s_mov_b32 s31, 0
	s_lshl_b64 s[4:5], s[30:31], 1
	v_and_b32_e32 v2, 0x3ff, v0
	s_add_u32 s4, s36, s4
	v_mbcnt_hi_u32_b32 v13, -1, v1
	s_addc_u32 s5, s37, s5
	v_mov_b32_e32 v5, 0
	v_and_b32_e32 v1, 0x3c0, v2
	v_lshlrev_b32_e32 v4, 1, v13
	v_mul_u32_u24_e32 v12, 6, v1
	v_lshl_add_u64 v[6:7], s[4:5], 0, v[4:5]
	s_load_dword s3, s[0:1], 0x50
	s_load_dword s4, s[0:1], 0x5c
	v_lshlrev_b32_e32 v4, 1, v12
	v_lshl_add_u64 v[18:19], v[6:7], 0, v[4:5]
	global_load_ushort v1, v[18:19], off
	s_add_u32 s0, s0, 0x50
	s_addc_u32 s1, s1, 0
	s_waitcnt lgkmcnt(0)
	s_lshr_b32 s4, s4, 16
	s_cmp_lt_u32 s2, s3
	s_cselect_b32 s5, 12, 18
	s_add_u32 s0, s0, s5
	s_addc_u32 s1, s1, 0
	global_load_ushort v4, v5, s[0:1]
	v_mul_u32_u24_e32 v6, 5, v2
	v_lshlrev_b32_e32 v6, 2, v6
	ds_write2_b32 v6, v5, v5 offset0:16 offset1:17
	ds_write2_b32 v6, v5, v5 offset0:18 offset1:19
	ds_write_b32 v6, v5 offset:80
	global_load_ushort v9, v[18:19], off offset:128
	global_load_ushort v15, v[18:19], off offset:256
	;; [unrolled: 1-line block ×5, first 2 shown]
	v_mov_b32_e32 v10, 0x7fff
	v_bfe_u32 v3, v0, 10, 10
	v_bfe_u32 v7, v0, 20, 10
	v_mad_u32_u24 v7, v7, s4, v3
	s_movk_i32 s12, 0x8000
	s_lshl_b32 s0, -1, s49
	s_not_b32 s14, s0
	v_mov_b32_e32 v0, v5
	v_mov_b32_e32 v24, v5
	;; [unrolled: 1-line block ×4, first 2 shown]
	s_waitcnt lgkmcnt(0)
	s_barrier
	s_waitcnt lgkmcnt(0)
	; wave barrier
	s_waitcnt vmcnt(6)
	v_cmp_gt_i16_e32 vcc, 0, v1
	s_nop 1
	v_cndmask_b32_e64 v3, v10, 0, vcc
	v_xor_b32_e32 v3, v3, v1
	v_cmp_ne_u16_e32 vcc, s12, v3
	s_waitcnt vmcnt(5)
	v_mad_u64_u32 v[18:19], s[0:1], v7, v4, v[2:3]
	v_cndmask_b32_e32 v1, v10, v3, vcc
	v_lshrrev_b32_sdwa v1, s48, v1 dst_sel:DWORD dst_unused:UNUSED_PAD src0_sel:DWORD src1_sel:WORD_0
	v_and_b32_e32 v8, s14, v1
	v_and_b32_e32 v4, 1, v8
	v_lshlrev_b32_e32 v1, 30, v8
	v_lshlrev_b32_e32 v25, 29, v8
	v_lshl_add_u64 v[30:31], v[4:5], 0, -1
	v_cmp_ne_u32_e32 vcc, 0, v4
	v_cmp_gt_i64_e64 s[0:1], 0, v[0:1]
	v_not_b32_e32 v0, v1
	v_lshlrev_b32_e32 v27, 28, v8
	v_not_b32_e32 v1, v25
	v_xor_b32_e32 v14, vcc_hi, v31
	v_xor_b32_e32 v16, vcc_lo, v30
	v_ashrrev_i32_e32 v0, 31, v0
	v_lshlrev_b32_e32 v29, 27, v8
	v_cmp_gt_i64_e64 s[4:5], 0, v[24:25]
	v_not_b32_e32 v4, v27
	v_ashrrev_i32_e32 v1, 31, v1
	v_and_b32_e32 v14, exec_hi, v14
	v_and_b32_e32 v16, exec_lo, v16
	v_xor_b32_e32 v19, s1, v0
	v_xor_b32_e32 v0, s0, v0
	v_cmp_gt_i64_e64 s[6:7], 0, v[26:27]
	v_not_b32_e32 v11, v29
	v_ashrrev_i32_e32 v4, 31, v4
	v_xor_b32_e32 v20, s5, v1
	v_xor_b32_e32 v1, s4, v1
	v_and_b32_e32 v14, v14, v19
	v_and_b32_e32 v0, v16, v0
	v_cmp_gt_i64_e64 s[8:9], 0, v[28:29]
	v_ashrrev_i32_e32 v11, 31, v11
	v_xor_b32_e32 v22, s7, v4
	v_xor_b32_e32 v4, s6, v4
	v_and_b32_e32 v14, v14, v20
	v_and_b32_e32 v0, v0, v1
	v_xor_b32_e32 v24, s9, v11
	v_xor_b32_e32 v11, s8, v11
	v_and_b32_e32 v1, v14, v22
	v_and_b32_e32 v0, v0, v4
	v_and_b32_e32 v4, v1, v24
	v_and_b32_e32 v11, v0, v11
	v_lshlrev_b32_e32 v1, 26, v8
	v_mov_b32_e32 v0, v5
	v_cmp_gt_i64_e32 vcc, 0, v[0:1]
	v_not_b32_e32 v0, v1
	v_ashrrev_i32_e32 v0, 31, v0
	v_xor_b32_e32 v1, vcc_hi, v0
	v_xor_b32_e32 v0, vcc_lo, v0
	v_and_b32_e32 v4, v4, v1
	v_and_b32_e32 v11, v11, v0
	v_lshlrev_b32_e32 v1, 25, v8
	v_mov_b32_e32 v0, v5
	v_cmp_gt_i64_e32 vcc, 0, v[0:1]
	v_not_b32_e32 v0, v1
	v_ashrrev_i32_e32 v0, 31, v0
	v_xor_b32_e32 v1, vcc_hi, v0
	v_xor_b32_e32 v0, vcc_lo, v0
	v_and_b32_e32 v4, v4, v1
	v_and_b32_e32 v11, v11, v0
	;; [unrolled: 9-line block ×3, first 2 shown]
	v_mbcnt_lo_u32_b32 v4, v0, 0
	v_mul_u32_u24_e32 v7, 17, v8
	v_mbcnt_hi_u32_b32 v8, v1, v4
	v_lshrrev_b32_e32 v18, 6, v18
	v_cmp_eq_u32_e32 vcc, 0, v8
	v_cmp_ne_u64_e64 s[0:1], 0, v[0:1]
	v_add_lshl_u32 v7, v18, v7, 2
	s_and_b64 s[4:5], s[0:1], vcc
	s_and_saveexec_b64 s[0:1], s[4:5]
	s_cbranch_execz .LBB12_89
; %bb.88:
	v_bcnt_u32_b32 v0, v0, 0
	v_bcnt_u32_b32 v0, v1, v0
	ds_write_b32 v7, v0 offset:64
.LBB12_89:
	s_or_b64 exec, exec, s[0:1]
	s_waitcnt vmcnt(4)
	v_cmp_gt_i16_e32 vcc, 0, v9
	; wave barrier
	s_nop 1
	v_cndmask_b32_e64 v0, v10, 0, vcc
	v_xor_b32_e32 v9, v0, v9
	v_cmp_ne_u16_e32 vcc, s12, v9
	s_nop 1
	v_cndmask_b32_e32 v0, v10, v9, vcc
	v_lshrrev_b32_sdwa v0, s48, v0 dst_sel:DWORD dst_unused:UNUSED_PAD src0_sel:DWORD src1_sel:WORD_0
	v_and_b32_e32 v14, s14, v0
	v_mul_u32_u24_e32 v0, 17, v14
	v_and_b32_e32 v4, 1, v14
	v_add_lshl_u32 v11, v18, v0, 2
	v_lshl_add_u64 v[0:1], v[4:5], 0, -1
	v_cmp_ne_u32_e32 vcc, 0, v4
	ds_read_b32 v10, v11 offset:64
	s_nop 0
	v_xor_b32_e32 v1, vcc_hi, v1
	v_xor_b32_e32 v0, vcc_lo, v0
	v_and_b32_e32 v4, exec_hi, v1
	v_and_b32_e32 v16, exec_lo, v0
	v_lshlrev_b32_e32 v1, 30, v14
	v_mov_b32_e32 v0, v5
	v_cmp_gt_i64_e32 vcc, 0, v[0:1]
	v_not_b32_e32 v0, v1
	v_ashrrev_i32_e32 v0, 31, v0
	v_xor_b32_e32 v1, vcc_hi, v0
	v_xor_b32_e32 v0, vcc_lo, v0
	v_and_b32_e32 v4, v4, v1
	v_and_b32_e32 v16, v16, v0
	v_lshlrev_b32_e32 v1, 29, v14
	v_mov_b32_e32 v0, v5
	v_cmp_gt_i64_e32 vcc, 0, v[0:1]
	v_not_b32_e32 v0, v1
	v_ashrrev_i32_e32 v0, 31, v0
	v_xor_b32_e32 v1, vcc_hi, v0
	v_xor_b32_e32 v0, vcc_lo, v0
	v_and_b32_e32 v4, v4, v1
	v_and_b32_e32 v16, v16, v0
	;; [unrolled: 9-line block ×7, first 2 shown]
	v_mbcnt_lo_u32_b32 v4, v0, 0
	v_mbcnt_hi_u32_b32 v14, v1, v4
	v_cmp_eq_u32_e32 vcc, 0, v14
	v_cmp_ne_u64_e64 s[0:1], 0, v[0:1]
	s_and_b64 s[4:5], s[0:1], vcc
	; wave barrier
	s_and_saveexec_b64 s[0:1], s[4:5]
	s_cbranch_execz .LBB12_91
; %bb.90:
	v_bcnt_u32_b32 v0, v0, 0
	v_bcnt_u32_b32 v0, v1, v0
	s_waitcnt lgkmcnt(0)
	v_add_u32_e32 v0, v10, v0
	ds_write_b32 v11, v0 offset:64
.LBB12_91:
	s_or_b64 exec, exec, s[0:1]
	v_mov_b32_e32 v22, 0x7fff
	s_waitcnt vmcnt(3)
	v_cmp_gt_i16_e32 vcc, 0, v15
	s_movk_i32 s4, 0x8000
	v_mov_b32_e32 v1, 0
	v_cndmask_b32_e64 v0, v22, 0, vcc
	v_xor_b32_e32 v15, v0, v15
	v_cmp_ne_u16_e32 vcc, s4, v15
	; wave barrier
	s_nop 1
	v_cndmask_b32_e32 v0, v22, v15, vcc
	v_lshrrev_b32_sdwa v0, s48, v0 dst_sel:DWORD dst_unused:UNUSED_PAD src0_sel:DWORD src1_sel:WORD_0
	v_and_b32_e32 v20, s14, v0
	v_mul_u32_u24_e32 v0, 17, v20
	v_add_lshl_u32 v19, v18, v0, 2
	v_and_b32_e32 v0, 1, v20
	v_lshl_add_u64 v[4:5], v[0:1], 0, -1
	v_cmp_ne_u32_e32 vcc, 0, v0
	ds_read_b32 v16, v19 offset:64
	s_nop 0
	v_xor_b32_e32 v4, vcc_lo, v4
	v_xor_b32_e32 v0, vcc_hi, v5
	v_and_b32_e32 v24, exec_lo, v4
	v_lshlrev_b32_e32 v5, 30, v20
	v_mov_b32_e32 v4, v1
	v_cmp_gt_i64_e32 vcc, 0, v[4:5]
	v_not_b32_e32 v4, v5
	v_ashrrev_i32_e32 v4, 31, v4
	v_and_b32_e32 v0, exec_hi, v0
	v_xor_b32_e32 v5, vcc_hi, v4
	v_xor_b32_e32 v4, vcc_lo, v4
	v_and_b32_e32 v0, v0, v5
	v_and_b32_e32 v24, v24, v4
	v_lshlrev_b32_e32 v5, 29, v20
	v_mov_b32_e32 v4, v1
	v_cmp_gt_i64_e32 vcc, 0, v[4:5]
	v_not_b32_e32 v4, v5
	v_ashrrev_i32_e32 v4, 31, v4
	v_xor_b32_e32 v5, vcc_hi, v4
	v_xor_b32_e32 v4, vcc_lo, v4
	v_and_b32_e32 v0, v0, v5
	v_and_b32_e32 v24, v24, v4
	v_lshlrev_b32_e32 v5, 28, v20
	v_mov_b32_e32 v4, v1
	v_cmp_gt_i64_e32 vcc, 0, v[4:5]
	v_not_b32_e32 v4, v5
	v_ashrrev_i32_e32 v4, 31, v4
	;; [unrolled: 9-line block ×6, first 2 shown]
	v_xor_b32_e32 v5, vcc_hi, v4
	v_xor_b32_e32 v4, vcc_lo, v4
	v_and_b32_e32 v4, v24, v4
	v_and_b32_e32 v5, v0, v5
	v_mbcnt_lo_u32_b32 v0, v4, 0
	v_mbcnt_hi_u32_b32 v20, v5, v0
	v_cmp_eq_u32_e32 vcc, 0, v20
	v_cmp_ne_u64_e64 s[0:1], 0, v[4:5]
	s_and_b64 s[6:7], s[0:1], vcc
	; wave barrier
	s_and_saveexec_b64 s[0:1], s[6:7]
	s_cbranch_execz .LBB12_93
; %bb.92:
	v_bcnt_u32_b32 v0, v4, 0
	v_bcnt_u32_b32 v0, v5, v0
	s_waitcnt lgkmcnt(0)
	v_add_u32_e32 v0, v16, v0
	ds_write_b32 v19, v0 offset:64
.LBB12_93:
	s_or_b64 exec, exec, s[0:1]
	s_waitcnt vmcnt(2)
	v_cmp_gt_i16_e32 vcc, 0, v21
	; wave barrier
	s_nop 1
	v_cndmask_b32_e64 v0, v22, 0, vcc
	v_xor_b32_e32 v21, v0, v21
	v_cmp_ne_u16_e32 vcc, s4, v21
	s_nop 1
	v_cndmask_b32_e32 v0, v22, v21, vcc
	v_lshrrev_b32_sdwa v0, s48, v0 dst_sel:DWORD dst_unused:UNUSED_PAD src0_sel:DWORD src1_sel:WORD_0
	v_and_b32_e32 v25, s14, v0
	v_mul_u32_u24_e32 v0, 17, v25
	v_add_lshl_u32 v24, v18, v0, 2
	v_and_b32_e32 v0, 1, v25
	v_lshl_add_u64 v[4:5], v[0:1], 0, -1
	v_cmp_ne_u32_e32 vcc, 0, v0
	ds_read_b32 v22, v24 offset:64
	s_nop 0
	v_xor_b32_e32 v4, vcc_lo, v4
	v_xor_b32_e32 v0, vcc_hi, v5
	v_and_b32_e32 v26, exec_lo, v4
	v_lshlrev_b32_e32 v5, 30, v25
	v_mov_b32_e32 v4, v1
	v_cmp_gt_i64_e32 vcc, 0, v[4:5]
	v_not_b32_e32 v4, v5
	v_ashrrev_i32_e32 v4, 31, v4
	v_and_b32_e32 v0, exec_hi, v0
	v_xor_b32_e32 v5, vcc_hi, v4
	v_xor_b32_e32 v4, vcc_lo, v4
	v_and_b32_e32 v0, v0, v5
	v_and_b32_e32 v26, v26, v4
	v_lshlrev_b32_e32 v5, 29, v25
	v_mov_b32_e32 v4, v1
	v_cmp_gt_i64_e32 vcc, 0, v[4:5]
	v_not_b32_e32 v4, v5
	v_ashrrev_i32_e32 v4, 31, v4
	v_xor_b32_e32 v5, vcc_hi, v4
	v_xor_b32_e32 v4, vcc_lo, v4
	v_and_b32_e32 v0, v0, v5
	v_and_b32_e32 v26, v26, v4
	v_lshlrev_b32_e32 v5, 28, v25
	v_mov_b32_e32 v4, v1
	v_cmp_gt_i64_e32 vcc, 0, v[4:5]
	v_not_b32_e32 v4, v5
	v_ashrrev_i32_e32 v4, 31, v4
	v_xor_b32_e32 v5, vcc_hi, v4
	v_xor_b32_e32 v4, vcc_lo, v4
	v_and_b32_e32 v0, v0, v5
	v_and_b32_e32 v26, v26, v4
	v_lshlrev_b32_e32 v5, 27, v25
	v_mov_b32_e32 v4, v1
	v_cmp_gt_i64_e32 vcc, 0, v[4:5]
	v_not_b32_e32 v4, v5
	v_ashrrev_i32_e32 v4, 31, v4
	v_xor_b32_e32 v5, vcc_hi, v4
	v_xor_b32_e32 v4, vcc_lo, v4
	v_and_b32_e32 v0, v0, v5
	v_and_b32_e32 v26, v26, v4
	v_lshlrev_b32_e32 v5, 26, v25
	v_mov_b32_e32 v4, v1
	v_cmp_gt_i64_e32 vcc, 0, v[4:5]
	v_not_b32_e32 v4, v5
	v_ashrrev_i32_e32 v4, 31, v4
	v_xor_b32_e32 v5, vcc_hi, v4
	v_xor_b32_e32 v4, vcc_lo, v4
	v_and_b32_e32 v0, v0, v5
	v_and_b32_e32 v26, v26, v4
	v_lshlrev_b32_e32 v5, 25, v25
	v_mov_b32_e32 v4, v1
	v_cmp_gt_i64_e32 vcc, 0, v[4:5]
	v_not_b32_e32 v4, v5
	v_ashrrev_i32_e32 v4, 31, v4
	v_xor_b32_e32 v5, vcc_hi, v4
	v_xor_b32_e32 v4, vcc_lo, v4
	v_and_b32_e32 v0, v0, v5
	v_lshlrev_b32_e32 v5, 24, v25
	v_and_b32_e32 v26, v26, v4
	v_mov_b32_e32 v4, v1
	v_not_b32_e32 v1, v5
	v_cmp_gt_i64_e32 vcc, 0, v[4:5]
	v_ashrrev_i32_e32 v1, 31, v1
	; wave barrier
	s_nop 0
	v_xor_b32_e32 v4, vcc_hi, v1
	v_xor_b32_e32 v5, vcc_lo, v1
	v_and_b32_e32 v1, v0, v4
	v_and_b32_e32 v0, v26, v5
	v_mbcnt_lo_u32_b32 v4, v0, 0
	v_mbcnt_hi_u32_b32 v25, v1, v4
	v_cmp_eq_u32_e32 vcc, 0, v25
	v_cmp_ne_u64_e64 s[0:1], 0, v[0:1]
	s_and_b64 s[4:5], s[0:1], vcc
	s_and_saveexec_b64 s[0:1], s[4:5]
	s_cbranch_execz .LBB12_95
; %bb.94:
	v_bcnt_u32_b32 v0, v0, 0
	v_bcnt_u32_b32 v0, v1, v0
	s_waitcnt lgkmcnt(0)
	v_add_u32_e32 v0, v22, v0
	ds_write_b32 v24, v0 offset:64
.LBB12_95:
	s_or_b64 exec, exec, s[0:1]
	v_mov_b32_e32 v30, 0x7fff
	s_waitcnt vmcnt(1)
	v_cmp_gt_i16_e32 vcc, 0, v23
	s_movk_i32 s4, 0x8000
	v_mov_b32_e32 v1, 0
	v_cndmask_b32_e64 v0, v30, 0, vcc
	v_xor_b32_e32 v23, v0, v23
	v_cmp_ne_u16_e32 vcc, s4, v23
	; wave barrier
	s_nop 1
	v_cndmask_b32_e32 v0, v30, v23, vcc
	v_lshrrev_b32_sdwa v0, s48, v0 dst_sel:DWORD dst_unused:UNUSED_PAD src0_sel:DWORD src1_sel:WORD_0
	v_and_b32_e32 v28, s14, v0
	v_mul_u32_u24_e32 v0, 17, v28
	v_add_lshl_u32 v27, v0, v18, 2
	v_and_b32_e32 v0, 1, v28
	v_lshl_add_u64 v[4:5], v[0:1], 0, -1
	v_cmp_ne_u32_e32 vcc, 0, v0
	ds_read_b32 v26, v27 offset:64
	s_nop 0
	v_xor_b32_e32 v4, vcc_lo, v4
	v_xor_b32_e32 v0, vcc_hi, v5
	v_and_b32_e32 v29, exec_lo, v4
	v_lshlrev_b32_e32 v5, 30, v28
	v_mov_b32_e32 v4, v1
	v_cmp_gt_i64_e32 vcc, 0, v[4:5]
	v_not_b32_e32 v4, v5
	v_ashrrev_i32_e32 v4, 31, v4
	v_and_b32_e32 v0, exec_hi, v0
	v_xor_b32_e32 v5, vcc_hi, v4
	v_xor_b32_e32 v4, vcc_lo, v4
	v_and_b32_e32 v0, v0, v5
	v_and_b32_e32 v29, v29, v4
	v_lshlrev_b32_e32 v5, 29, v28
	v_mov_b32_e32 v4, v1
	v_cmp_gt_i64_e32 vcc, 0, v[4:5]
	v_not_b32_e32 v4, v5
	v_ashrrev_i32_e32 v4, 31, v4
	v_xor_b32_e32 v5, vcc_hi, v4
	v_xor_b32_e32 v4, vcc_lo, v4
	v_and_b32_e32 v0, v0, v5
	v_and_b32_e32 v29, v29, v4
	v_lshlrev_b32_e32 v5, 28, v28
	v_mov_b32_e32 v4, v1
	v_cmp_gt_i64_e32 vcc, 0, v[4:5]
	v_not_b32_e32 v4, v5
	v_ashrrev_i32_e32 v4, 31, v4
	;; [unrolled: 9-line block ×6, first 2 shown]
	v_xor_b32_e32 v5, vcc_hi, v4
	v_xor_b32_e32 v4, vcc_lo, v4
	v_and_b32_e32 v4, v29, v4
	v_and_b32_e32 v5, v0, v5
	v_mbcnt_lo_u32_b32 v0, v4, 0
	v_mbcnt_hi_u32_b32 v28, v5, v0
	v_cmp_eq_u32_e32 vcc, 0, v28
	v_cmp_ne_u64_e64 s[0:1], 0, v[4:5]
	s_and_b64 s[6:7], s[0:1], vcc
	; wave barrier
	s_and_saveexec_b64 s[0:1], s[6:7]
	s_cbranch_execz .LBB12_97
; %bb.96:
	v_bcnt_u32_b32 v0, v4, 0
	v_bcnt_u32_b32 v0, v5, v0
	s_waitcnt lgkmcnt(0)
	v_add_u32_e32 v0, v26, v0
	ds_write_b32 v27, v0 offset:64
.LBB12_97:
	s_or_b64 exec, exec, s[0:1]
	s_waitcnt vmcnt(0)
	v_cmp_gt_i16_e32 vcc, 0, v17
	; wave barrier
	s_nop 1
	v_cndmask_b32_e64 v0, v30, 0, vcc
	v_xor_b32_e32 v29, v0, v17
	v_cmp_ne_u16_e32 vcc, s4, v29
	v_add_u32_e32 v31, 64, v6
	s_nop 0
	v_cndmask_b32_e32 v0, v30, v29, vcc
	v_lshrrev_b32_sdwa v0, s48, v0 dst_sel:DWORD dst_unused:UNUSED_PAD src0_sel:DWORD src1_sel:WORD_0
	v_and_b32_e32 v32, s14, v0
	v_mul_u32_u24_e32 v0, 17, v32
	v_add_lshl_u32 v17, v0, v18, 2
	v_and_b32_e32 v0, 1, v32
	v_lshl_add_u64 v[4:5], v[0:1], 0, -1
	v_cmp_ne_u32_e32 vcc, 0, v0
	ds_read_b32 v30, v17 offset:64
	s_nop 0
	v_xor_b32_e32 v4, vcc_lo, v4
	v_xor_b32_e32 v0, vcc_hi, v5
	v_and_b32_e32 v18, exec_lo, v4
	v_lshlrev_b32_e32 v5, 30, v32
	v_mov_b32_e32 v4, v1
	v_cmp_gt_i64_e32 vcc, 0, v[4:5]
	v_not_b32_e32 v4, v5
	v_ashrrev_i32_e32 v4, 31, v4
	v_and_b32_e32 v0, exec_hi, v0
	v_xor_b32_e32 v5, vcc_hi, v4
	v_xor_b32_e32 v4, vcc_lo, v4
	v_and_b32_e32 v0, v0, v5
	v_and_b32_e32 v18, v18, v4
	v_lshlrev_b32_e32 v5, 29, v32
	v_mov_b32_e32 v4, v1
	v_cmp_gt_i64_e32 vcc, 0, v[4:5]
	v_not_b32_e32 v4, v5
	v_ashrrev_i32_e32 v4, 31, v4
	v_xor_b32_e32 v5, vcc_hi, v4
	v_xor_b32_e32 v4, vcc_lo, v4
	v_and_b32_e32 v0, v0, v5
	v_and_b32_e32 v18, v18, v4
	v_lshlrev_b32_e32 v5, 28, v32
	v_mov_b32_e32 v4, v1
	v_cmp_gt_i64_e32 vcc, 0, v[4:5]
	v_not_b32_e32 v4, v5
	v_ashrrev_i32_e32 v4, 31, v4
	;; [unrolled: 9-line block ×5, first 2 shown]
	v_xor_b32_e32 v5, vcc_hi, v4
	v_xor_b32_e32 v4, vcc_lo, v4
	v_and_b32_e32 v0, v0, v5
	v_lshlrev_b32_e32 v5, 24, v32
	v_and_b32_e32 v18, v18, v4
	v_mov_b32_e32 v4, v1
	v_not_b32_e32 v1, v5
	v_cmp_gt_i64_e32 vcc, 0, v[4:5]
	v_ashrrev_i32_e32 v1, 31, v1
	; wave barrier
	s_nop 0
	v_xor_b32_e32 v4, vcc_hi, v1
	v_xor_b32_e32 v5, vcc_lo, v1
	v_and_b32_e32 v1, v0, v4
	v_and_b32_e32 v0, v18, v5
	v_mbcnt_lo_u32_b32 v4, v0, 0
	v_mbcnt_hi_u32_b32 v32, v1, v4
	v_cmp_eq_u32_e32 vcc, 0, v32
	v_cmp_ne_u64_e64 s[0:1], 0, v[0:1]
	s_and_b64 s[4:5], s[0:1], vcc
	s_and_saveexec_b64 s[0:1], s[4:5]
	s_cbranch_execz .LBB12_99
; %bb.98:
	v_bcnt_u32_b32 v0, v0, 0
	v_bcnt_u32_b32 v0, v1, v0
	s_waitcnt lgkmcnt(0)
	v_add_u32_e32 v0, v30, v0
	ds_write_b32 v17, v0 offset:64
.LBB12_99:
	s_or_b64 exec, exec, s[0:1]
	; wave barrier
	s_waitcnt lgkmcnt(0)
	s_barrier
	ds_read2_b32 v[4:5], v6 offset0:16 offset1:17
	ds_read2_b32 v[0:1], v31 offset0:2 offset1:3
	ds_read_b32 v18, v31 offset:16
	v_cmp_lt_u32_e64 s[8:9], 31, v13
	s_waitcnt lgkmcnt(1)
	v_add3_u32 v33, v5, v4, v0
	s_waitcnt lgkmcnt(0)
	v_add3_u32 v18, v33, v1, v18
	v_and_b32_e32 v33, 15, v13
	v_cmp_eq_u32_e32 vcc, 0, v33
	v_mov_b32_dpp v34, v18 row_shr:1 row_mask:0xf bank_mask:0xf
	v_cmp_lt_u32_e64 s[0:1], 1, v33
	v_cndmask_b32_e64 v34, v34, 0, vcc
	v_add_u32_e32 v18, v34, v18
	v_cmp_lt_u32_e64 s[6:7], 3, v33
	v_cmp_lt_u32_e64 s[4:5], 7, v33
	v_mov_b32_dpp v34, v18 row_shr:2 row_mask:0xf bank_mask:0xf
	v_cndmask_b32_e64 v34, 0, v34, s[0:1]
	v_add_u32_e32 v18, v18, v34
	s_nop 1
	v_mov_b32_dpp v34, v18 row_shr:4 row_mask:0xf bank_mask:0xf
	v_cndmask_b32_e64 v34, 0, v34, s[6:7]
	v_add_u32_e32 v18, v18, v34
	s_nop 1
	v_mov_b32_dpp v34, v18 row_shr:8 row_mask:0xf bank_mask:0xf
	v_cndmask_b32_e64 v33, 0, v34, s[4:5]
	v_add_u32_e32 v18, v18, v33
	v_bfe_i32 v34, v13, 4, 1
	s_nop 0
	v_mov_b32_dpp v33, v18 row_bcast:15 row_mask:0xf bank_mask:0xf
	v_and_b32_e32 v33, v34, v33
	v_add_u32_e32 v18, v18, v33
	v_and_b32_e32 v34, 63, v2
	s_nop 0
	v_mov_b32_dpp v33, v18 row_bcast:31 row_mask:0xf bank_mask:0xf
	v_cndmask_b32_e64 v33, 0, v33, s[8:9]
	v_add_u32_e32 v18, v18, v33
	v_lshrrev_b32_e32 v33, 6, v2
	v_cmp_eq_u32_e64 s[8:9], 63, v34
	s_and_saveexec_b64 s[12:13], s[8:9]
	s_cbranch_execz .LBB12_101
; %bb.100:
	v_lshlrev_b32_e32 v34, 2, v33
	ds_write_b32 v34, v18
.LBB12_101:
	s_or_b64 exec, exec, s[12:13]
	v_cmp_gt_u32_e64 s[8:9], 16, v2
	s_waitcnt lgkmcnt(0)
	s_barrier
	s_and_saveexec_b64 s[12:13], s[8:9]
	s_cbranch_execz .LBB12_103
; %bb.102:
	v_lshlrev_b32_e32 v34, 2, v2
	ds_read_b32 v35, v34
	s_waitcnt lgkmcnt(0)
	s_nop 0
	v_mov_b32_dpp v36, v35 row_shr:1 row_mask:0xf bank_mask:0xf
	v_cndmask_b32_e64 v36, v36, 0, vcc
	v_add_u32_e32 v35, v36, v35
	s_nop 1
	v_mov_b32_dpp v36, v35 row_shr:2 row_mask:0xf bank_mask:0xf
	v_cndmask_b32_e64 v36, 0, v36, s[0:1]
	v_add_u32_e32 v35, v35, v36
	s_nop 1
	v_mov_b32_dpp v36, v35 row_shr:4 row_mask:0xf bank_mask:0xf
	v_cndmask_b32_e64 v36, 0, v36, s[6:7]
	v_add_u32_e32 v35, v35, v36
	s_nop 1
	v_mov_b32_dpp v36, v35 row_shr:8 row_mask:0xf bank_mask:0xf
	v_cndmask_b32_e64 v36, 0, v36, s[4:5]
	v_add_u32_e32 v35, v35, v36
	ds_write_b32 v34, v35
.LBB12_103:
	s_or_b64 exec, exec, s[12:13]
	v_cmp_lt_u32_e32 vcc, 63, v2
	v_mov_b32_e32 v34, 0
	s_waitcnt lgkmcnt(0)
	s_barrier
	s_and_saveexec_b64 s[0:1], vcc
	s_cbranch_execz .LBB12_105
; %bb.104:
	v_lshl_add_u32 v33, v33, 2, -4
	ds_read_b32 v34, v33
.LBB12_105:
	s_or_b64 exec, exec, s[0:1]
	v_add_u32_e32 v33, -1, v13
	v_and_b32_e32 v35, 64, v13
	v_cmp_lt_i32_e32 vcc, v33, v35
	s_waitcnt lgkmcnt(0)
	v_add_u32_e32 v18, v34, v18
	s_movk_i32 s4, 0xff
	v_cndmask_b32_e32 v33, v33, v13, vcc
	v_lshlrev_b32_e32 v33, 2, v33
	ds_bpermute_b32 v18, v33, v18
	v_cmp_eq_u32_e32 vcc, 0, v13
	s_movk_i32 s5, 0x100
	v_cmp_lt_u32_e64 s[0:1], s4, v2
	s_waitcnt lgkmcnt(0)
	v_cndmask_b32_e32 v18, v18, v34, vcc
	v_cmp_ne_u32_e32 vcc, 0, v2
	s_nop 1
	v_cndmask_b32_e32 v18, 0, v18, vcc
	v_add_u32_e32 v4, v18, v4
	v_add_u32_e32 v5, v4, v5
	;; [unrolled: 1-line block ×4, first 2 shown]
	ds_write2_b32 v6, v18, v4 offset0:16 offset1:17
	ds_write2_b32 v31, v5, v0 offset0:2 offset1:3
	ds_write_b32 v31, v1 offset:16
	s_waitcnt lgkmcnt(0)
	s_barrier
	ds_read_b32 v5, v7 offset:64
	ds_read_b32 v6, v11 offset:64
	;; [unrolled: 1-line block ×6, first 2 shown]
	v_cmp_gt_u32_e32 vcc, s5, v2
	v_mov_b64_e32 v[0:1], 0
                                        ; implicit-def: $vgpr4
	s_and_saveexec_b64 s[6:7], vcc
	s_cbranch_execz .LBB12_109
; %bb.106:
	v_mul_u32_u24_e32 v0, 17, v2
	v_lshlrev_b32_e32 v4, 2, v0
	ds_read_b32 v0, v4 offset:64
	v_cmp_ne_u32_e64 s[4:5], s4, v2
	v_mov_b32_e32 v1, 0x1800
	s_and_saveexec_b64 s[8:9], s[4:5]
	s_cbranch_execz .LBB12_108
; %bb.107:
	ds_read_b32 v1, v4 offset:132
.LBB12_108:
	s_or_b64 exec, exec, s[8:9]
	s_waitcnt lgkmcnt(0)
	v_sub_u32_e32 v4, v1, v0
	v_mov_b32_e32 v1, 0
.LBB12_109:
	s_or_b64 exec, exec, s[6:7]
	s_waitcnt lgkmcnt(5)
	v_add_u32_e32 v19, v5, v8
	s_waitcnt lgkmcnt(4)
	v_add3_u32 v18, v14, v10, v6
	v_lshlrev_b32_e32 v6, 1, v19
	s_waitcnt lgkmcnt(3)
	v_add3_u32 v17, v20, v16, v7
	s_waitcnt lgkmcnt(0)
	s_barrier
	ds_write_b16 v6, v3 offset:2048
	v_lshlrev_b32_e32 v3, 1, v18
	v_add3_u32 v16, v25, v22, v11
	ds_write_b16 v3, v9 offset:2048
	v_lshlrev_b32_e32 v3, 1, v17
	v_add3_u32 v14, v28, v26, v24
	;; [unrolled: 3-line block ×3, first 2 shown]
	ds_write_b16 v3, v21 offset:2048
	v_lshlrev_b32_e32 v3, 1, v14
	ds_write_b16 v3, v23 offset:2048
	v_lshlrev_b32_e32 v3, 1, v5
	ds_write_b16 v3, v29 offset:2048
	s_waitcnt lgkmcnt(0)
	s_barrier
	s_and_saveexec_b64 s[4:5], s[0:1]
	s_xor_b64 s[0:1], exec, s[4:5]
; %bb.110:
	v_mov_b32_e32 v3, 0
; %bb.111:
	s_andn2_saveexec_b64 s[4:5], s[0:1]
	s_cbranch_execz .LBB12_121
; %bb.112:
	v_lshl_or_b32 v8, s2, 8, v2
	v_mov_b32_e32 v9, 0
	v_lshl_add_u64 v[6:7], v[8:9], 2, s[34:35]
	v_or_b32_e32 v3, 2.0, v4
	s_mov_b64 s[6:7], 0
	s_brev_b32 s15, 1
	s_mov_b32 s16, s2
	v_mov_b32_e32 v15, 0
	global_store_dword v[6:7], v3, off sc1
                                        ; implicit-def: $sgpr0_sgpr1
	s_branch .LBB12_115
.LBB12_113:                             ;   in Loop: Header=BB12_115 Depth=1
	s_or_b64 exec, exec, s[12:13]
.LBB12_114:                             ;   in Loop: Header=BB12_115 Depth=1
	s_or_b64 exec, exec, s[8:9]
	v_and_b32_e32 v8, 0x3fffffff, v8
	v_add_u32_e32 v15, v8, v15
	v_cmp_eq_u32_e64 s[0:1], s15, v3
	s_and_b64 s[8:9], exec, s[0:1]
	s_or_b64 s[6:7], s[8:9], s[6:7]
	s_andn2_b64 exec, exec, s[6:7]
	s_cbranch_execz .LBB12_120
.LBB12_115:                             ; =>This Loop Header: Depth=1
                                        ;     Child Loop BB12_118 Depth 2
	s_or_b64 s[0:1], s[0:1], exec
	s_cmp_eq_u32 s16, 0
	s_cbranch_scc1 .LBB12_119
; %bb.116:                              ;   in Loop: Header=BB12_115 Depth=1
	s_add_i32 s16, s16, -1
	v_lshl_or_b32 v8, s16, 8, v2
	v_lshl_add_u64 v[10:11], v[8:9], 2, s[34:35]
	global_load_dword v8, v[10:11], off sc1
	s_waitcnt vmcnt(0)
	v_and_b32_e32 v3, -2.0, v8
	v_cmp_eq_u32_e64 s[0:1], 0, v3
	s_and_saveexec_b64 s[8:9], s[0:1]
	s_cbranch_execz .LBB12_114
; %bb.117:                              ;   in Loop: Header=BB12_115 Depth=1
	s_mov_b64 s[12:13], 0
.LBB12_118:                             ;   Parent Loop BB12_115 Depth=1
                                        ; =>  This Inner Loop Header: Depth=2
	global_load_dword v8, v[10:11], off sc1
	s_waitcnt vmcnt(0)
	v_and_b32_e32 v3, -2.0, v8
	v_cmp_ne_u32_e64 s[0:1], 0, v3
	s_or_b64 s[12:13], s[0:1], s[12:13]
	s_andn2_b64 exec, exec, s[12:13]
	s_cbranch_execnz .LBB12_118
	s_branch .LBB12_113
.LBB12_119:                             ;   in Loop: Header=BB12_115 Depth=1
                                        ; implicit-def: $sgpr16
	s_and_b64 s[8:9], exec, s[0:1]
	s_or_b64 s[6:7], s[8:9], s[6:7]
	s_andn2_b64 exec, exec, s[6:7]
	s_cbranch_execnz .LBB12_115
.LBB12_120:
	s_or_b64 exec, exec, s[6:7]
	v_add_u32_e32 v3, v15, v4
	v_or_b32_e32 v3, 0x80000000, v3
	global_store_dword v[6:7], v3, off sc1
	v_lshlrev_b32_e32 v10, 3, v2
	global_load_dwordx2 v[6:7], v10, s[44:45]
	v_sub_co_u32_e64 v8, s[0:1], v15, v0
	v_mov_b32_e32 v3, 0
	s_nop 0
	v_subb_co_u32_e64 v9, s[0:1], 0, v1, s[0:1]
	s_waitcnt vmcnt(0)
	v_lshl_add_u64 v[6:7], v[8:9], 0, v[6:7]
	ds_write_b64 v10, v[6:7]
.LBB12_121:
	s_or_b64 exec, exec, s[4:5]
	v_lshlrev_b32_e32 v15, 1, v2
	s_waitcnt lgkmcnt(0)
	s_barrier
	ds_read_u16 v40, v15 offset:8192
	ds_read_u16 v43, v15 offset:12288
	;; [unrolled: 1-line block ×4, first 2 shown]
	s_movk_i32 s4, 0x8000
	v_mov_b32_e32 v41, 0x7fff
	s_waitcnt lgkmcnt(3)
	v_cmp_ne_u16_e64 s[0:1], s4, v40
	v_or_b32_e32 v42, 0x800, v2
	v_or_b32_e32 v50, 0xc00, v2
	v_cndmask_b32_e64 v6, v41, v40, s[0:1]
	v_lshrrev_b32_sdwa v6, s48, v6 dst_sel:DWORD dst_unused:UNUSED_PAD src0_sel:DWORD src1_sel:WORD_0
	s_waitcnt lgkmcnt(1)
	v_cmp_ne_u16_e64 s[0:1], s4, v44
	v_and_b32_e32 v6, s14, v6
	v_lshlrev_b32_e32 v47, 3, v6
	v_cndmask_b32_e64 v7, v41, v44, s[0:1]
	s_waitcnt lgkmcnt(0)
	v_cmp_ne_u16_e64 s[0:1], s4, v45
	v_lshrrev_b32_sdwa v7, s48, v7 dst_sel:DWORD dst_unused:UNUSED_PAD src0_sel:DWORD src1_sel:WORD_0
	v_and_b32_e32 v7, s14, v7
	v_cndmask_b32_e64 v6, v41, v45, s[0:1]
	v_lshrrev_b32_sdwa v6, s48, v6 dst_sel:DWORD dst_unused:UNUSED_PAD src0_sel:DWORD src1_sel:WORD_0
	v_and_b32_e32 v6, s14, v6
	v_cmp_ne_u16_e64 s[0:1], s4, v43
	v_lshlrev_b32_e32 v48, 3, v6
	v_lshlrev_b32_e32 v46, 3, v7
	v_cndmask_b32_e64 v6, v41, v43, s[0:1]
	v_lshrrev_b32_sdwa v6, s48, v6 dst_sel:DWORD dst_unused:UNUSED_PAD src0_sel:DWORD src1_sel:WORD_0
	v_and_b32_e32 v8, s14, v6
	ds_read_b64 v[6:7], v46
	v_lshlrev_b32_e32 v49, 3, v8
	ds_read_b64 v[8:9], v47
	ds_read_b64 v[10:11], v48
	ds_read_b64 v[20:21], v49
	v_or_b32_e32 v51, 0x1000, v2
	v_or_b32_e32 v52, 0x1400, v2
	s_waitcnt lgkmcnt(3)
	v_lshl_add_u64 v[22:23], v[6:7], 1, s[38:39]
	v_lshlrev_b32_e32 v6, 1, v42
	v_mov_b32_e32 v7, 0
	v_lshl_add_u64 v[22:23], v[22:23], 0, v[6:7]
	s_waitcnt lgkmcnt(2)
	v_lshl_add_u64 v[8:9], v[8:9], 1, s[38:39]
	v_lshlrev_b32_e32 v6, 1, v50
	v_lshl_add_u64 v[8:9], v[8:9], 0, v[6:7]
	s_waitcnt lgkmcnt(1)
	v_lshl_add_u64 v[10:11], v[10:11], 1, s[38:39]
	v_lshlrev_b32_e32 v6, 1, v51
	s_lshl_b64 s[0:1], s[30:31], 3
	v_lshl_add_u64 v[10:11], v[10:11], 0, v[6:7]
	s_waitcnt lgkmcnt(0)
	v_lshl_add_u64 v[20:21], v[20:21], 1, s[38:39]
	v_lshlrev_b32_e32 v6, 1, v52
	s_add_u32 s0, s40, s0
	v_lshl_add_u64 v[20:21], v[20:21], 0, v[6:7]
	s_addc_u32 s1, s41, s1
	v_lshlrev_b32_e32 v6, 3, v13
	v_lshl_add_u64 v[24:25], s[0:1], 0, v[6:7]
	v_lshlrev_b32_e32 v6, 3, v12
	v_lshl_add_u64 v[12:13], v[24:25], 0, v[6:7]
	global_load_dwordx2 v[24:25], v[12:13], off
	global_load_dwordx2 v[26:27], v[12:13], off offset:512
	global_load_dwordx2 v[28:29], v[12:13], off offset:1024
	;; [unrolled: 1-line block ×5, first 2 shown]
	v_lshlrev_b32_e32 v6, 1, v2
	ds_read_u16 v6, v6 offset:2048
	ds_read_u16 v53, v15 offset:4096
	v_lshlrev_b32_e32 v5, 3, v5
	s_add_i32 s3, s3, -1
	s_cmp_eq_u32 s2, s3
	s_waitcnt lgkmcnt(1)
	v_cmp_ne_u16_e64 s[0:1], s4, v6
	s_nop 1
	v_cndmask_b32_e64 v12, v41, v6, s[0:1]
	v_lshrrev_b32_sdwa v12, s48, v12 dst_sel:DWORD dst_unused:UNUSED_PAD src0_sel:DWORD src1_sel:WORD_0
	v_and_b32_e32 v12, s14, v12
	s_waitcnt lgkmcnt(0)
	v_cmp_ne_u16_e64 s[0:1], s4, v53
	v_lshlrev_b32_e32 v54, 3, v12
	ds_read_b64 v[12:13], v54
	v_cndmask_b32_e64 v36, v41, v53, s[0:1]
	v_lshrrev_b32_sdwa v36, s48, v36 dst_sel:DWORD dst_unused:UNUSED_PAD src0_sel:DWORD src1_sel:WORD_0
	v_and_b32_e32 v36, s14, v36
	v_lshlrev_b32_e32 v55, 3, v36
	ds_read_b64 v[36:37], v55
	v_cmp_gt_i16_e64 s[0:1], 0, v6
	s_waitcnt lgkmcnt(1)
	v_lshl_add_u64 v[12:13], v[12:13], 1, s[38:39]
	v_cndmask_b32_e64 v38, v41, 0, s[0:1]
	v_xor_b32_e32 v6, v38, v6
	v_lshlrev_b64 v[38:39], 1, v[2:3]
	v_lshl_add_u64 v[12:13], v[12:13], 0, v[38:39]
	v_cmp_gt_i16_e64 s[0:1], 0, v53
	global_store_short v[12:13], v6, off
	v_or_b32_e32 v6, 0x800, v15
	v_cndmask_b32_e64 v12, v41, 0, s[0:1]
	v_xor_b32_e32 v15, v12, v53
	s_waitcnt lgkmcnt(0)
	v_lshl_add_u64 v[12:13], v[36:37], 1, s[38:39]
	v_lshl_add_u64 v[12:13], v[12:13], 0, v[38:39]
	v_cmp_gt_i16_e64 s[0:1], 0, v44
	global_store_short v[12:13], v15, off offset:2048
	s_nop 0
	v_cndmask_b32_e64 v12, v41, 0, s[0:1]
	v_xor_b32_e32 v12, v12, v44
	v_cmp_gt_i16_e64 s[0:1], 0, v40
	global_store_short v[22:23], v12, off
	s_nop 0
	v_cndmask_b32_e64 v12, v41, 0, s[0:1]
	v_xor_b32_e32 v12, v12, v40
	v_cmp_gt_i16_e64 s[0:1], 0, v45
	global_store_short v[8:9], v12, off
	;; [unrolled: 5-line block ×3, first 2 shown]
	s_nop 0
	v_cndmask_b32_e64 v8, v41, 0, s[0:1]
	v_xor_b32_e32 v8, v8, v43
	global_store_short v[20:21], v8, off
	v_lshlrev_b32_e32 v8, 3, v19
	s_barrier
	s_cselect_b64 s[0:1], -1, 0
	s_and_b64 s[2:3], vcc, s[0:1]
	s_waitcnt vmcnt(11)
	ds_write_b64 v8, v[24:25] offset:2048
	v_lshlrev_b32_e32 v8, 3, v18
	s_waitcnt vmcnt(10)
	ds_write_b64 v8, v[26:27] offset:2048
	v_lshlrev_b32_e32 v8, 3, v17
	;; [unrolled: 3-line block ×4, first 2 shown]
	s_waitcnt vmcnt(7)
	ds_write_b64 v8, v[32:33] offset:2048
	s_waitcnt vmcnt(6)
	ds_write_b64 v5, v[34:35] offset:2048
	s_waitcnt lgkmcnt(0)
	s_barrier
	ds_read_b64 v[8:9], v54
	v_lshlrev_b32_e32 v5, 3, v2
	ds_read_b64 v[12:13], v55
	ds_read_b64 v[14:15], v46
	;; [unrolled: 1-line block ×3, first 2 shown]
	ds_read_b64 v[10:11], v5 offset:2048
	v_mad_u32_u24 v5, v2, 6, v6
	s_waitcnt lgkmcnt(4)
	v_lshl_add_u64 v[8:9], v[8:9], 3, s[42:43]
	v_lshl_add_u64 v[8:9], v[2:3], 3, v[8:9]
	ds_read_b64 v[18:19], v48
	ds_read_b64 v[20:21], v5 offset:40960
	ds_read_b64 v[22:23], v49
	s_waitcnt lgkmcnt(3)
	global_store_dwordx2 v[8:9], v[10:11], off
	ds_read2st64_b64 v[8:11], v5 offset0:16 offset1:32
	v_mov_b32_e32 v6, 0x2000
	v_lshl_add_u64 v[12:13], v[12:13], 3, s[42:43]
	v_lshl_or_b32 v6, v2, 3, v6
	v_lshl_add_u64 v[12:13], v[12:13], 0, v[6:7]
	s_waitcnt lgkmcnt(0)
	global_store_dwordx2 v[12:13], v[8:9], off
	v_lshl_add_u64 v[8:9], v[14:15], 3, s[42:43]
	ds_read2st64_b64 v[12:15], v5 offset0:48 offset1:64
	v_lshlrev_b32_e32 v6, 3, v42
	v_lshl_add_u64 v[8:9], v[8:9], 0, v[6:7]
	global_store_dwordx2 v[8:9], v[10:11], off
	v_lshl_add_u64 v[8:9], v[16:17], 3, s[42:43]
	v_lshlrev_b32_e32 v6, 3, v50
	v_lshl_add_u64 v[8:9], v[8:9], 0, v[6:7]
	s_waitcnt lgkmcnt(0)
	global_store_dwordx2 v[8:9], v[12:13], off
	v_lshl_add_u64 v[8:9], v[18:19], 3, s[42:43]
	v_lshlrev_b32_e32 v6, 3, v51
	v_lshl_add_u64 v[8:9], v[8:9], 0, v[6:7]
	global_store_dwordx2 v[8:9], v[14:15], off
	v_lshl_add_u64 v[8:9], v[22:23], 3, s[42:43]
	v_lshlrev_b32_e32 v6, 3, v52
	v_lshl_add_u64 v[8:9], v[8:9], 0, v[6:7]
	global_store_dwordx2 v[8:9], v[20:21], off
                                        ; implicit-def: $vgpr8_vgpr9
	s_and_saveexec_b64 s[0:1], s[2:3]
; %bb.122:
	v_mov_b32_e32 v5, v7
	v_lshl_add_u64 v[8:9], v[0:1], 0, v[4:5]
	s_or_b64 s[10:11], s[10:11], exec
; %bb.123:
	s_or_b64 exec, exec, s[0:1]
.LBB12_124:
	s_and_saveexec_b64 s[0:1], s[10:11]
	s_cbranch_execnz .LBB12_126
; %bb.125:
	s_endpgm
.LBB12_126:
	v_lshlrev_b32_e32 v0, 3, v2
	ds_read_b64 v[0:1], v0
	v_mov_b32_e32 v4, s46
	v_mov_b32_e32 v5, s47
	v_lshl_add_u64 v[2:3], v[2:3], 3, v[4:5]
	s_waitcnt lgkmcnt(0)
	v_lshl_add_u64 v[0:1], v[0:1], 0, v[8:9]
	global_store_dwordx2 v[2:3], v[0:1], off
	s_endpgm
.LBB12_127:
	global_load_dwordx2 v[10:11], v[22:23], off
	s_or_b64 exec, exec, s[28:29]
                                        ; implicit-def: $vgpr12_vgpr13
	s_and_saveexec_b64 s[28:29], s[26:27]
	s_cbranch_execz .LBB12_59
.LBB12_128:
	global_load_dwordx2 v[12:13], v[22:23], off offset:512
	s_or_b64 exec, exec, s[28:29]
                                        ; implicit-def: $vgpr14_vgpr15
	s_and_saveexec_b64 s[26:27], s[4:5]
	s_cbranch_execz .LBB12_60
.LBB12_129:
	global_load_dwordx2 v[14:15], v[22:23], off offset:1024
	s_or_b64 exec, exec, s[26:27]
                                        ; implicit-def: $vgpr16_vgpr17
	s_and_saveexec_b64 s[4:5], s[6:7]
	s_cbranch_execz .LBB12_61
.LBB12_130:
	global_load_dwordx2 v[16:17], v[22:23], off offset:1536
	s_or_b64 exec, exec, s[4:5]
                                        ; implicit-def: $vgpr18_vgpr19
	s_and_saveexec_b64 s[4:5], s[8:9]
	s_cbranch_execz .LBB12_62
.LBB12_131:
	global_load_dwordx2 v[18:19], v[22:23], off offset:2048
	s_or_b64 exec, exec, s[4:5]
                                        ; implicit-def: $vgpr20_vgpr21
	s_and_saveexec_b64 s[4:5], s[10:11]
	s_cbranch_execnz .LBB12_63
	s_branch .LBB12_64
.LBB12_132:
	v_lshlrev_b32_e32 v7, 3, v9
	ds_read_b64 v[10:11], v7
	ds_read_b64 v[12:13], v8 offset:2048
	v_mov_b32_e32 v9, 0
	s_waitcnt lgkmcnt(1)
	v_lshl_add_u64 v[10:11], v[10:11], 3, s[42:43]
	v_lshl_add_u64 v[10:11], v[10:11], 0, v[8:9]
	s_waitcnt lgkmcnt(0)
	global_store_dwordx2 v[10:11], v[12:13], off
	s_or_b64 exec, exec, s[4:5]
	s_and_saveexec_b64 s[4:5], s[16:17]
	s_cbranch_execz .LBB12_78
.LBB12_133:
	v_lshlrev_b32_e32 v7, 3, v23
	ds_read_b64 v[10:11], v7
	ds_read_b64 v[12:13], v8 offset:10240
	v_lshlrev_b32_e32 v14, 3, v29
	v_mov_b32_e32 v15, 0
	s_waitcnt lgkmcnt(1)
	v_lshl_add_u64 v[10:11], v[10:11], 3, s[42:43]
	v_lshl_add_u64 v[10:11], v[10:11], 0, v[14:15]
	s_waitcnt lgkmcnt(0)
	global_store_dwordx2 v[10:11], v[12:13], off
	s_or_b64 exec, exec, s[4:5]
	s_and_saveexec_b64 s[4:5], s[18:19]
	s_cbranch_execz .LBB12_79
.LBB12_134:
	v_lshlrev_b32_e32 v7, 3, v35
	ds_read_b64 v[10:11], v7
	ds_read_b64 v[12:13], v8 offset:18432
	v_lshlrev_b32_e32 v14, 3, v30
	v_mov_b32_e32 v15, 0
	s_waitcnt lgkmcnt(1)
	v_lshl_add_u64 v[10:11], v[10:11], 3, s[42:43]
	v_lshl_add_u64 v[10:11], v[10:11], 0, v[14:15]
	s_waitcnt lgkmcnt(0)
	global_store_dwordx2 v[10:11], v[12:13], off
	s_or_b64 exec, exec, s[4:5]
	s_and_saveexec_b64 s[4:5], s[20:21]
	s_cbranch_execz .LBB12_80
.LBB12_135:
	v_lshlrev_b32_e32 v7, 3, v22
	ds_read_b64 v[10:11], v7
	ds_read_b64 v[12:13], v8 offset:26624
	v_lshlrev_b32_e32 v14, 3, v31
	v_mov_b32_e32 v15, 0
	s_waitcnt lgkmcnt(1)
	v_lshl_add_u64 v[10:11], v[10:11], 3, s[42:43]
	v_lshl_add_u64 v[10:11], v[10:11], 0, v[14:15]
	s_waitcnt lgkmcnt(0)
	global_store_dwordx2 v[10:11], v[12:13], off
	s_or_b64 exec, exec, s[4:5]
	s_and_saveexec_b64 s[4:5], s[22:23]
	s_cbranch_execz .LBB12_81
.LBB12_136:
	v_lshlrev_b32_e32 v7, 3, v34
	ds_read_b64 v[10:11], v7
	ds_read_b64 v[12:13], v8 offset:34816
	v_lshlrev_b32_e32 v14, 3, v32
	v_mov_b32_e32 v15, 0
	s_waitcnt lgkmcnt(1)
	v_lshl_add_u64 v[10:11], v[10:11], 3, s[42:43]
	v_lshl_add_u64 v[10:11], v[10:11], 0, v[14:15]
	s_waitcnt lgkmcnt(0)
	global_store_dwordx2 v[10:11], v[12:13], off
	s_or_b64 exec, exec, s[4:5]
	s_and_saveexec_b64 s[4:5], s[24:25]
	s_cbranch_execnz .LBB12_82
	s_branch .LBB12_83
	.section	.rodata,"a",@progbits
	.p2align	6, 0x0
	.amdhsa_kernel _ZN7rocprim17ROCPRIM_304000_NS6detail25onesweep_iteration_kernelINS1_34wrapped_radix_sort_onesweep_configINS0_14default_configE12hip_bfloat16N2at4cuda3cub6detail10OpaqueTypeILi8EEEEELb1EPS5_SD_PSB_SE_mNS0_19identity_decomposerEEEvT1_T2_T3_T4_jPT5_SL_PNS1_23onesweep_lookback_stateET6_jjj
		.amdhsa_group_segment_fixed_size 51200
		.amdhsa_private_segment_fixed_size 0
		.amdhsa_kernarg_size 336
		.amdhsa_user_sgpr_count 2
		.amdhsa_user_sgpr_dispatch_ptr 0
		.amdhsa_user_sgpr_queue_ptr 0
		.amdhsa_user_sgpr_kernarg_segment_ptr 1
		.amdhsa_user_sgpr_dispatch_id 0
		.amdhsa_user_sgpr_kernarg_preload_length 0
		.amdhsa_user_sgpr_kernarg_preload_offset 0
		.amdhsa_user_sgpr_private_segment_size 0
		.amdhsa_uses_dynamic_stack 0
		.amdhsa_enable_private_segment 0
		.amdhsa_system_sgpr_workgroup_id_x 1
		.amdhsa_system_sgpr_workgroup_id_y 0
		.amdhsa_system_sgpr_workgroup_id_z 0
		.amdhsa_system_sgpr_workgroup_info 0
		.amdhsa_system_vgpr_workitem_id 2
		.amdhsa_next_free_vgpr 56
		.amdhsa_next_free_sgpr 52
		.amdhsa_accum_offset 56
		.amdhsa_reserve_vcc 1
		.amdhsa_float_round_mode_32 0
		.amdhsa_float_round_mode_16_64 0
		.amdhsa_float_denorm_mode_32 3
		.amdhsa_float_denorm_mode_16_64 3
		.amdhsa_dx10_clamp 1
		.amdhsa_ieee_mode 1
		.amdhsa_fp16_overflow 0
		.amdhsa_tg_split 0
		.amdhsa_exception_fp_ieee_invalid_op 0
		.amdhsa_exception_fp_denorm_src 0
		.amdhsa_exception_fp_ieee_div_zero 0
		.amdhsa_exception_fp_ieee_overflow 0
		.amdhsa_exception_fp_ieee_underflow 0
		.amdhsa_exception_fp_ieee_inexact 0
		.amdhsa_exception_int_div_zero 0
	.end_amdhsa_kernel
	.section	.text._ZN7rocprim17ROCPRIM_304000_NS6detail25onesweep_iteration_kernelINS1_34wrapped_radix_sort_onesweep_configINS0_14default_configE12hip_bfloat16N2at4cuda3cub6detail10OpaqueTypeILi8EEEEELb1EPS5_SD_PSB_SE_mNS0_19identity_decomposerEEEvT1_T2_T3_T4_jPT5_SL_PNS1_23onesweep_lookback_stateET6_jjj,"axG",@progbits,_ZN7rocprim17ROCPRIM_304000_NS6detail25onesweep_iteration_kernelINS1_34wrapped_radix_sort_onesweep_configINS0_14default_configE12hip_bfloat16N2at4cuda3cub6detail10OpaqueTypeILi8EEEEELb1EPS5_SD_PSB_SE_mNS0_19identity_decomposerEEEvT1_T2_T3_T4_jPT5_SL_PNS1_23onesweep_lookback_stateET6_jjj,comdat
.Lfunc_end12:
	.size	_ZN7rocprim17ROCPRIM_304000_NS6detail25onesweep_iteration_kernelINS1_34wrapped_radix_sort_onesweep_configINS0_14default_configE12hip_bfloat16N2at4cuda3cub6detail10OpaqueTypeILi8EEEEELb1EPS5_SD_PSB_SE_mNS0_19identity_decomposerEEEvT1_T2_T3_T4_jPT5_SL_PNS1_23onesweep_lookback_stateET6_jjj, .Lfunc_end12-_ZN7rocprim17ROCPRIM_304000_NS6detail25onesweep_iteration_kernelINS1_34wrapped_radix_sort_onesweep_configINS0_14default_configE12hip_bfloat16N2at4cuda3cub6detail10OpaqueTypeILi8EEEEELb1EPS5_SD_PSB_SE_mNS0_19identity_decomposerEEEvT1_T2_T3_T4_jPT5_SL_PNS1_23onesweep_lookback_stateET6_jjj
                                        ; -- End function
	.section	.AMDGPU.csdata,"",@progbits
; Kernel info:
; codeLenInByte = 12196
; NumSgprs: 58
; NumVgprs: 56
; NumAgprs: 0
; TotalNumVgprs: 56
; ScratchSize: 0
; MemoryBound: 0
; FloatMode: 240
; IeeeMode: 1
; LDSByteSize: 51200 bytes/workgroup (compile time only)
; SGPRBlocks: 7
; VGPRBlocks: 6
; NumSGPRsForWavesPerEU: 58
; NumVGPRsForWavesPerEU: 56
; AccumOffset: 56
; Occupancy: 4
; WaveLimiterHint : 1
; COMPUTE_PGM_RSRC2:SCRATCH_EN: 0
; COMPUTE_PGM_RSRC2:USER_SGPR: 2
; COMPUTE_PGM_RSRC2:TRAP_HANDLER: 0
; COMPUTE_PGM_RSRC2:TGID_X_EN: 1
; COMPUTE_PGM_RSRC2:TGID_Y_EN: 0
; COMPUTE_PGM_RSRC2:TGID_Z_EN: 0
; COMPUTE_PGM_RSRC2:TIDIG_COMP_CNT: 2
; COMPUTE_PGM_RSRC3_GFX90A:ACCUM_OFFSET: 13
; COMPUTE_PGM_RSRC3_GFX90A:TG_SPLIT: 0
	.section	.text._ZN7rocprim17ROCPRIM_304000_NS6detail28radix_sort_block_sort_kernelINS1_36wrapped_radix_sort_block_sort_configINS0_13kernel_configILj256ELj4ELj4294967295EEE12hip_bfloat16N2at4cuda3cub6detail10OpaqueTypeILi8EEEEELb0EPKS6_PS6_PKSC_PSC_NS0_19identity_decomposerEEEvT1_T2_T3_T4_jT5_jj,"axG",@progbits,_ZN7rocprim17ROCPRIM_304000_NS6detail28radix_sort_block_sort_kernelINS1_36wrapped_radix_sort_block_sort_configINS0_13kernel_configILj256ELj4ELj4294967295EEE12hip_bfloat16N2at4cuda3cub6detail10OpaqueTypeILi8EEEEELb0EPKS6_PS6_PKSC_PSC_NS0_19identity_decomposerEEEvT1_T2_T3_T4_jT5_jj,comdat
	.protected	_ZN7rocprim17ROCPRIM_304000_NS6detail28radix_sort_block_sort_kernelINS1_36wrapped_radix_sort_block_sort_configINS0_13kernel_configILj256ELj4ELj4294967295EEE12hip_bfloat16N2at4cuda3cub6detail10OpaqueTypeILi8EEEEELb0EPKS6_PS6_PKSC_PSC_NS0_19identity_decomposerEEEvT1_T2_T3_T4_jT5_jj ; -- Begin function _ZN7rocprim17ROCPRIM_304000_NS6detail28radix_sort_block_sort_kernelINS1_36wrapped_radix_sort_block_sort_configINS0_13kernel_configILj256ELj4ELj4294967295EEE12hip_bfloat16N2at4cuda3cub6detail10OpaqueTypeILi8EEEEELb0EPKS6_PS6_PKSC_PSC_NS0_19identity_decomposerEEEvT1_T2_T3_T4_jT5_jj
	.globl	_ZN7rocprim17ROCPRIM_304000_NS6detail28radix_sort_block_sort_kernelINS1_36wrapped_radix_sort_block_sort_configINS0_13kernel_configILj256ELj4ELj4294967295EEE12hip_bfloat16N2at4cuda3cub6detail10OpaqueTypeILi8EEEEELb0EPKS6_PS6_PKSC_PSC_NS0_19identity_decomposerEEEvT1_T2_T3_T4_jT5_jj
	.p2align	8
	.type	_ZN7rocprim17ROCPRIM_304000_NS6detail28radix_sort_block_sort_kernelINS1_36wrapped_radix_sort_block_sort_configINS0_13kernel_configILj256ELj4ELj4294967295EEE12hip_bfloat16N2at4cuda3cub6detail10OpaqueTypeILi8EEEEELb0EPKS6_PS6_PKSC_PSC_NS0_19identity_decomposerEEEvT1_T2_T3_T4_jT5_jj,@function
_ZN7rocprim17ROCPRIM_304000_NS6detail28radix_sort_block_sort_kernelINS1_36wrapped_radix_sort_block_sort_configINS0_13kernel_configILj256ELj4ELj4294967295EEE12hip_bfloat16N2at4cuda3cub6detail10OpaqueTypeILi8EEEEELb0EPKS6_PS6_PKSC_PSC_NS0_19identity_decomposerEEEvT1_T2_T3_T4_jT5_jj: ; @_ZN7rocprim17ROCPRIM_304000_NS6detail28radix_sort_block_sort_kernelINS1_36wrapped_radix_sort_block_sort_configINS0_13kernel_configILj256ELj4ELj4294967295EEE12hip_bfloat16N2at4cuda3cub6detail10OpaqueTypeILi8EEEEELb0EPKS6_PS6_PKSC_PSC_NS0_19identity_decomposerEEEvT1_T2_T3_T4_jT5_jj
; %bb.0:
	s_load_dword s4, s[0:1], 0x20
	s_load_dwordx8 s[36:43], s[0:1], 0x0
	s_lshl_b32 s28, s2, 10
	s_mov_b32 s29, 0
	v_and_b32_e32 v8, 0x3ff, v0
	s_waitcnt lgkmcnt(0)
	s_lshr_b32 s3, s4, 10
	s_cmp_lg_u32 s2, s3
	s_cselect_b64 s[30:31], -1, 0
	s_lshl_b64 s[34:35], s[28:29], 1
	v_mbcnt_lo_u32_b32 v1, -1, 0
	s_add_u32 s6, s36, s34
	v_mbcnt_hi_u32_b32 v1, -1, v1
	v_lshlrev_b32_e32 v12, 2, v8
	s_addc_u32 s7, s37, s35
	v_and_b32_e32 v13, 0x300, v12
	v_mov_b32_e32 v5, 0
	v_lshlrev_b32_e32 v4, 1, v1
	v_lshl_add_u64 v[2:3], s[6:7], 0, v[4:5]
	v_lshlrev_b32_e32 v4, 1, v13
	s_cmp_eq_u32 s2, s3
	v_lshl_add_u64 v[10:11], v[2:3], 0, v[4:5]
	v_lshlrev_b32_e32 v4, 3, v1
	v_lshlrev_b32_e32 v6, 3, v13
	v_add_u32_e32 v9, v1, v13
	s_cbranch_scc1 .LBB13_2
; %bb.1:
	s_lshl_b64 s[2:3], s[28:29], 3
	s_add_u32 s2, s40, s2
	s_addc_u32 s3, s41, s3
	v_lshl_add_u64 v[2:3], s[2:3], 0, v[4:5]
	v_mov_b32_e32 v7, v5
	v_lshl_add_u64 v[26:27], v[2:3], 0, v[6:7]
	global_load_ushort v16, v[10:11], off
	global_load_ushort v14, v[10:11], off offset:128
	global_load_ushort v19, v[10:11], off offset:256
	;; [unrolled: 1-line block ×3, first 2 shown]
	global_load_dwordx2 v[2:3], v[26:27], off
	global_load_dwordx2 v[20:21], v[26:27], off offset:512
	global_load_dwordx2 v[22:23], v[26:27], off offset:1024
	;; [unrolled: 1-line block ×3, first 2 shown]
	v_add_u32_e32 v5, v1, v13
	v_add_u32_e32 v13, 64, v5
	;; [unrolled: 1-line block ×4, first 2 shown]
	s_sub_i32 s33, s4, s28
	s_cbranch_execz .LBB13_3
	s_branch .LBB13_17
.LBB13_2:
                                        ; implicit-def: $vgpr2_vgpr3
                                        ; implicit-def: $vgpr20_vgpr21
                                        ; implicit-def: $vgpr22_vgpr23
                                        ; implicit-def: $vgpr24_vgpr25
                                        ; implicit-def: $vgpr16
                                        ; implicit-def: $vgpr14
                                        ; implicit-def: $vgpr19
                                        ; implicit-def: $vgpr18
                                        ; implicit-def: $vgpr5
                                        ; implicit-def: $vgpr13
                                        ; implicit-def: $vgpr15
                                        ; implicit-def: $vgpr17
	s_sub_i32 s33, s4, s28
.LBB13_3:
	v_cmp_gt_u32_e32 vcc, s33, v9
	s_waitcnt vmcnt(6)
	v_mov_b32_e32 v14, 0x7fff
	v_mov_b32_e32 v16, 0x7fff
	s_and_saveexec_b64 s[2:3], vcc
	s_cbranch_execz .LBB13_5
; %bb.4:
	global_load_ushort v16, v[10:11], off
.LBB13_5:
	s_or_b64 exec, exec, s[2:3]
	v_add_u32_e32 v13, 64, v9
	v_cmp_gt_u32_e64 s[2:3], s33, v13
	s_and_saveexec_b64 s[4:5], s[2:3]
	s_cbranch_execz .LBB13_7
; %bb.6:
	global_load_ushort v14, v[10:11], off offset:128
.LBB13_7:
	s_or_b64 exec, exec, s[4:5]
	v_add_u32_e32 v15, 0x80, v9
	v_cmp_gt_u32_e64 s[4:5], s33, v15
	s_waitcnt vmcnt(4)
	v_mov_b32_e32 v18, 0x7fff
	v_mov_b32_e32 v19, 0x7fff
	s_and_saveexec_b64 s[6:7], s[4:5]
	s_cbranch_execz .LBB13_9
; %bb.8:
	global_load_ushort v19, v[10:11], off offset:256
.LBB13_9:
	s_or_b64 exec, exec, s[6:7]
	v_add_u32_e32 v17, 0xc0, v9
	v_cmp_gt_u32_e64 s[6:7], s33, v17
	s_and_saveexec_b64 s[8:9], s[6:7]
	s_cbranch_execz .LBB13_11
; %bb.10:
	global_load_ushort v18, v[10:11], off offset:384
.LBB13_11:
	s_or_b64 exec, exec, s[8:9]
	s_lshl_b64 s[8:9], s[28:29], 3
	s_add_u32 s8, s40, s8
	s_addc_u32 s9, s41, s9
	v_mov_b32_e32 v5, 0
	s_waitcnt vmcnt(3)
	v_lshl_add_u64 v[2:3], s[8:9], 0, v[4:5]
	v_mov_b32_e32 v7, v5
	v_lshl_add_u64 v[4:5], v[2:3], 0, v[6:7]
                                        ; implicit-def: $vgpr2_vgpr3
	s_and_saveexec_b64 s[8:9], vcc
	s_cbranch_execnz .LBB13_54
; %bb.12:
	s_or_b64 exec, exec, s[8:9]
                                        ; implicit-def: $vgpr20_vgpr21
	s_and_saveexec_b64 s[8:9], s[2:3]
	s_cbranch_execnz .LBB13_55
.LBB13_13:
	s_or_b64 exec, exec, s[8:9]
                                        ; implicit-def: $vgpr22_vgpr23
	s_and_saveexec_b64 s[2:3], s[4:5]
	s_cbranch_execnz .LBB13_56
.LBB13_14:
	s_or_b64 exec, exec, s[2:3]
                                        ; implicit-def: $vgpr24_vgpr25
	s_and_saveexec_b64 s[2:3], s[6:7]
	s_cbranch_execz .LBB13_16
.LBB13_15:
	global_load_dwordx2 v[24:25], v[4:5], off offset:1536
.LBB13_16:
	s_or_b64 exec, exec, s[2:3]
	v_mov_b32_e32 v5, v9
.LBB13_17:
	s_load_dwordx2 s[36:37], s[0:1], 0x28
	v_mov_b32_e32 v9, 0xffff8000
	s_load_dword s0, s[0:1], 0x3c
	s_waitcnt vmcnt(0)
	v_cmp_lt_i16_e32 vcc, -1, v16
	s_mov_b32 s26, 0
	v_cmp_lt_u32_e64 s[10:11], 31, v1
	v_cndmask_b32_e32 v4, -1, v9, vcc
	v_cmp_lt_i16_e32 vcc, -1, v14
	v_xor_b32_e32 v46, v4, v16
	s_waitcnt lgkmcnt(0)
	s_lshr_b32 s1, s0, 16
	v_cndmask_b32_e32 v4, -1, v9, vcc
	v_cmp_lt_i16_e32 vcc, -1, v19
	v_xor_b32_e32 v47, v4, v14
	s_and_b32 s0, s0, 0xffff
	v_cndmask_b32_e32 v4, -1, v9, vcc
	v_cmp_lt_i16_e32 vcc, -1, v18
	v_xor_b32_e32 v48, v4, v19
	v_cmp_eq_u32_e64 s[18:19], 0, v1
	v_cndmask_b32_e32 v4, -1, v9, vcc
	v_xor_b32_e32 v49, v4, v18
	v_bfe_u32 v4, v0, 10, 10
	v_bfe_u32 v0, v0, 20, 10
	v_mad_u32_u24 v0, v0, s1, v4
	v_mad_u64_u32 v[6:7], s[0:1], v0, s0, v[8:9]
	v_and_b32_e32 v0, 15, v1
	v_cmp_eq_u32_e64 s[0:1], 0, v0
	v_cmp_lt_u32_e64 s[2:3], 1, v0
	v_cmp_lt_u32_e64 s[4:5], 3, v0
	;; [unrolled: 1-line block ×3, first 2 shown]
	v_and_b32_e32 v0, 16, v1
	v_cmp_eq_u32_e64 s[8:9], 0, v0
	v_and_b32_e32 v0, 0x3c0, v8
	v_min_u32_e32 v0, 0xc0, v0
	v_or_b32_e32 v0, 63, v0
	v_cmp_eq_u32_e64 s[12:13], v0, v8
	v_add_u32_e32 v0, -1, v1
	v_and_b32_e32 v4, 64, v1
	v_cmp_lt_i32_e32 vcc, v0, v4
	v_lshlrev_b32_e32 v27, 2, v12
	v_lshrrev_b32_e32 v29, 6, v6
	v_cndmask_b32_e32 v0, v0, v1, vcc
	v_lshlrev_b32_e32 v30, 2, v0
	v_lshrrev_b32_e32 v0, 4, v8
	v_and_b32_e32 v1, 3, v1
	v_and_b32_e32 v31, 60, v0
	v_mul_i32_i24_e32 v0, -12, v8
	v_cmp_eq_u32_e64 s[22:23], 0, v1
	v_cmp_lt_u32_e64 s[24:25], 1, v1
	v_lshlrev_b32_e32 v33, 1, v5
	v_lshlrev_b32_e32 v34, 1, v13
	;; [unrolled: 1-line block ×4, first 2 shown]
	v_mul_lo_u32 v1, v5, 6
	v_mul_lo_u32 v4, v13, 6
	;; [unrolled: 1-line block ×4, first 2 shown]
	s_mov_b32 s27, s26
	s_mov_b32 s44, s26
	;; [unrolled: 1-line block ×3, first 2 shown]
	s_add_i32 s40, s37, s36
	v_cmp_gt_u32_e64 s[14:15], 4, v8
	v_cmp_lt_u32_e64 s[16:17], 63, v8
	v_cmp_eq_u32_e64 s[20:21], 0, v8
	v_add_u32_e32 v32, -4, v31
	v_mov_b64_e32 v[14:15], s[26:27]
	v_mov_b64_e32 v[16:17], s[44:45]
	s_movk_i32 s41, 0x7fff
	v_add_u32_e32 v37, v27, v0
	v_add_u32_e32 v38, v33, v1
	;; [unrolled: 1-line block ×5, first 2 shown]
	v_mov_b32_e32 v19, 0
	s_branch .LBB13_19
.LBB13_18:                              ;   in Loop: Header=BB13_19 Depth=1
	v_mad_u64_u32 v[2:3], s[26:27], v52, 6, v[28:29]
	s_barrier
	ds_write_b16 v28, v45
	ds_write_b16 v26, v44
	;; [unrolled: 1-line block ×4, first 2 shown]
	s_waitcnt lgkmcnt(0)
	s_barrier
	ds_read_u16 v46, v33
	ds_read_u16 v47, v34
	;; [unrolled: 1-line block ×4, first 2 shown]
	s_waitcnt lgkmcnt(0)
	s_barrier
	ds_write_b64 v2, v[12:13]
	v_mad_u64_u32 v[2:3], s[26:27], v51, 6, v[26:27]
	ds_write_b64 v2, v[10:11]
	v_mad_u64_u32 v[2:3], s[26:27], v50, 6, v[18:19]
	ds_write_b64 v2, v[6:7]
	v_mad_u64_u32 v[2:3], s[26:27], v1, 6, v[0:1]
	ds_write_b64 v2, v[4:5]
	s_waitcnt lgkmcnt(0)
	s_barrier
	ds_read_b64 v[2:3], v38
	ds_read_b64 v[20:21], v39
	;; [unrolled: 1-line block ×4, first 2 shown]
	s_add_i32 s37, s37, -8
	s_waitcnt lgkmcnt(0)
	s_barrier
	s_cbranch_execz .LBB13_35
.LBB13_19:                              ; =>This Inner Loop Header: Depth=1
	v_mov_b32_e32 v45, v46
	s_min_u32 s26, s37, 8
	v_cmp_ne_u16_e32 vcc, s41, v45
	s_lshl_b32 s26, -1, s26
	s_not_b32 s44, s26
	v_cndmask_b32_e32 v0, v9, v45, vcc
	v_lshrrev_b32_sdwa v0, s36, v0 dst_sel:DWORD dst_unused:UNUSED_PAD src0_sel:DWORD src1_sel:WORD_0
	v_mov_b64_e32 v[12:13], v[2:3]
	v_and_b32_e32 v2, s44, v0
	v_lshl_add_u32 v0, v2, 2, v29
	v_and_b32_e32 v18, 1, v2
	v_mov_b64_e32 v[10:11], v[20:21]
	v_lshl_add_u32 v20, v0, 2, 16
	v_lshl_add_u64 v[0:1], v[18:19], 0, -1
	v_cmp_ne_u32_e32 vcc, 0, v18
	v_mov_b64_e32 v[6:7], v[22:23]
	v_mov_b64_e32 v[4:5], v[24:25]
	v_xor_b32_e32 v1, vcc_hi, v1
	v_xor_b32_e32 v0, vcc_lo, v0
	v_and_b32_e32 v3, exec_hi, v1
	v_and_b32_e32 v18, exec_lo, v0
	v_lshlrev_b32_e32 v1, 30, v2
	v_mov_b32_e32 v0, v19
	v_cmp_gt_i64_e32 vcc, 0, v[0:1]
	v_not_b32_e32 v0, v1
	v_ashrrev_i32_e32 v0, 31, v0
	v_xor_b32_e32 v1, vcc_hi, v0
	v_xor_b32_e32 v0, vcc_lo, v0
	v_and_b32_e32 v3, v3, v1
	v_and_b32_e32 v18, v18, v0
	v_lshlrev_b32_e32 v1, 29, v2
	v_mov_b32_e32 v0, v19
	v_cmp_gt_i64_e32 vcc, 0, v[0:1]
	v_not_b32_e32 v0, v1
	v_ashrrev_i32_e32 v0, 31, v0
	v_xor_b32_e32 v1, vcc_hi, v0
	v_xor_b32_e32 v0, vcc_lo, v0
	v_and_b32_e32 v3, v3, v1
	v_and_b32_e32 v18, v18, v0
	;; [unrolled: 9-line block ×7, first 2 shown]
	v_mbcnt_lo_u32_b32 v2, v0, 0
	v_mbcnt_hi_u32_b32 v21, v1, v2
	v_cmp_eq_u32_e32 vcc, 0, v21
	v_cmp_ne_u64_e64 s[26:27], 0, v[0:1]
	v_mov_b32_e32 v44, v47
	v_mov_b32_e32 v43, v48
	;; [unrolled: 1-line block ×3, first 2 shown]
	s_and_b64 s[46:47], s[26:27], vcc
	ds_write2_b64 v27, v[14:15], v[16:17] offset0:2 offset1:3
	s_waitcnt lgkmcnt(0)
	s_barrier
	s_waitcnt lgkmcnt(0)
	; wave barrier
	s_and_saveexec_b64 s[26:27], s[46:47]
	s_cbranch_execz .LBB13_21
; %bb.20:                               ;   in Loop: Header=BB13_19 Depth=1
	v_bcnt_u32_b32 v0, v0, 0
	v_bcnt_u32_b32 v0, v1, v0
	ds_write_b32 v20, v0
.LBB13_21:                              ;   in Loop: Header=BB13_19 Depth=1
	s_or_b64 exec, exec, s[26:27]
	v_cmp_ne_u16_e32 vcc, s41, v44
	; wave barrier
	s_nop 1
	v_cndmask_b32_e32 v0, v9, v44, vcc
	v_lshrrev_b32_sdwa v0, s36, v0 dst_sel:DWORD dst_unused:UNUSED_PAD src0_sel:DWORD src1_sel:WORD_0
	v_and_b32_e32 v2, s44, v0
	v_lshlrev_b32_e32 v0, 2, v2
	v_add_lshl_u32 v0, v0, v29, 2
	v_and_b32_e32 v18, 1, v2
	v_add_u32_e32 v23, 16, v0
	ds_read_b32 v22, v0 offset:16
	v_lshl_add_u64 v[0:1], v[18:19], 0, -1
	v_cmp_ne_u32_e32 vcc, 0, v18
	; wave barrier
	s_nop 1
	v_xor_b32_e32 v1, vcc_hi, v1
	v_xor_b32_e32 v0, vcc_lo, v0
	v_and_b32_e32 v3, exec_hi, v1
	v_and_b32_e32 v18, exec_lo, v0
	v_lshlrev_b32_e32 v1, 30, v2
	v_mov_b32_e32 v0, v19
	v_cmp_gt_i64_e32 vcc, 0, v[0:1]
	v_not_b32_e32 v0, v1
	v_ashrrev_i32_e32 v0, 31, v0
	v_xor_b32_e32 v1, vcc_hi, v0
	v_xor_b32_e32 v0, vcc_lo, v0
	v_and_b32_e32 v3, v3, v1
	v_and_b32_e32 v18, v18, v0
	v_lshlrev_b32_e32 v1, 29, v2
	v_mov_b32_e32 v0, v19
	v_cmp_gt_i64_e32 vcc, 0, v[0:1]
	v_not_b32_e32 v0, v1
	v_ashrrev_i32_e32 v0, 31, v0
	v_xor_b32_e32 v1, vcc_hi, v0
	v_xor_b32_e32 v0, vcc_lo, v0
	v_and_b32_e32 v3, v3, v1
	v_and_b32_e32 v18, v18, v0
	;; [unrolled: 9-line block ×7, first 2 shown]
	v_mbcnt_lo_u32_b32 v2, v0, 0
	v_mbcnt_hi_u32_b32 v24, v1, v2
	v_cmp_eq_u32_e32 vcc, 0, v24
	v_cmp_ne_u64_e64 s[26:27], 0, v[0:1]
	s_and_b64 s[46:47], s[26:27], vcc
	s_and_saveexec_b64 s[26:27], s[46:47]
	s_cbranch_execz .LBB13_23
; %bb.22:                               ;   in Loop: Header=BB13_19 Depth=1
	v_bcnt_u32_b32 v0, v0, 0
	v_bcnt_u32_b32 v0, v1, v0
	s_waitcnt lgkmcnt(0)
	v_add_u32_e32 v0, v22, v0
	ds_write_b32 v23, v0
.LBB13_23:                              ;   in Loop: Header=BB13_19 Depth=1
	s_or_b64 exec, exec, s[26:27]
	v_cmp_ne_u16_e32 vcc, s41, v43
	; wave barrier
	s_nop 1
	v_cndmask_b32_e32 v0, v9, v43, vcc
	v_lshrrev_b32_sdwa v0, s36, v0 dst_sel:DWORD dst_unused:UNUSED_PAD src0_sel:DWORD src1_sel:WORD_0
	v_and_b32_e32 v2, s44, v0
	v_lshlrev_b32_e32 v0, 2, v2
	v_add_lshl_u32 v0, v0, v29, 2
	v_and_b32_e32 v18, 1, v2
	v_add_u32_e32 v26, 16, v0
	ds_read_b32 v25, v0 offset:16
	v_lshl_add_u64 v[0:1], v[18:19], 0, -1
	v_cmp_ne_u32_e32 vcc, 0, v18
	; wave barrier
	s_nop 1
	v_xor_b32_e32 v1, vcc_hi, v1
	v_xor_b32_e32 v0, vcc_lo, v0
	v_and_b32_e32 v3, exec_hi, v1
	v_and_b32_e32 v18, exec_lo, v0
	v_lshlrev_b32_e32 v1, 30, v2
	v_mov_b32_e32 v0, v19
	v_cmp_gt_i64_e32 vcc, 0, v[0:1]
	v_not_b32_e32 v0, v1
	v_ashrrev_i32_e32 v0, 31, v0
	v_xor_b32_e32 v1, vcc_hi, v0
	v_xor_b32_e32 v0, vcc_lo, v0
	v_and_b32_e32 v3, v3, v1
	v_and_b32_e32 v18, v18, v0
	v_lshlrev_b32_e32 v1, 29, v2
	v_mov_b32_e32 v0, v19
	v_cmp_gt_i64_e32 vcc, 0, v[0:1]
	v_not_b32_e32 v0, v1
	v_ashrrev_i32_e32 v0, 31, v0
	v_xor_b32_e32 v1, vcc_hi, v0
	v_xor_b32_e32 v0, vcc_lo, v0
	v_and_b32_e32 v3, v3, v1
	v_and_b32_e32 v18, v18, v0
	;; [unrolled: 9-line block ×7, first 2 shown]
	v_mbcnt_lo_u32_b32 v2, v0, 0
	v_mbcnt_hi_u32_b32 v28, v1, v2
	v_cmp_eq_u32_e32 vcc, 0, v28
	v_cmp_ne_u64_e64 s[26:27], 0, v[0:1]
	s_and_b64 s[46:47], s[26:27], vcc
	s_and_saveexec_b64 s[26:27], s[46:47]
	s_cbranch_execz .LBB13_25
; %bb.24:                               ;   in Loop: Header=BB13_19 Depth=1
	v_bcnt_u32_b32 v0, v0, 0
	v_bcnt_u32_b32 v0, v1, v0
	s_waitcnt lgkmcnt(0)
	v_add_u32_e32 v0, v25, v0
	ds_write_b32 v26, v0
.LBB13_25:                              ;   in Loop: Header=BB13_19 Depth=1
	s_or_b64 exec, exec, s[26:27]
	v_cmp_ne_u16_e32 vcc, s41, v42
	; wave barrier
	s_nop 1
	v_cndmask_b32_e32 v0, v9, v42, vcc
	v_lshrrev_b32_sdwa v0, s36, v0 dst_sel:DWORD dst_unused:UNUSED_PAD src0_sel:DWORD src1_sel:WORD_0
	v_and_b32_e32 v2, s44, v0
	v_lshlrev_b32_e32 v0, 2, v2
	v_add_lshl_u32 v0, v0, v29, 2
	v_and_b32_e32 v18, 1, v2
	v_add_u32_e32 v47, 16, v0
	ds_read_b32 v46, v0 offset:16
	v_lshl_add_u64 v[0:1], v[18:19], 0, -1
	v_cmp_ne_u32_e32 vcc, 0, v18
	; wave barrier
	s_nop 1
	v_xor_b32_e32 v1, vcc_hi, v1
	v_xor_b32_e32 v0, vcc_lo, v0
	v_and_b32_e32 v3, exec_hi, v1
	v_and_b32_e32 v18, exec_lo, v0
	v_lshlrev_b32_e32 v1, 30, v2
	v_mov_b32_e32 v0, v19
	v_cmp_gt_i64_e32 vcc, 0, v[0:1]
	v_not_b32_e32 v0, v1
	v_ashrrev_i32_e32 v0, 31, v0
	v_xor_b32_e32 v1, vcc_hi, v0
	v_xor_b32_e32 v0, vcc_lo, v0
	v_and_b32_e32 v3, v3, v1
	v_and_b32_e32 v18, v18, v0
	v_lshlrev_b32_e32 v1, 29, v2
	v_mov_b32_e32 v0, v19
	v_cmp_gt_i64_e32 vcc, 0, v[0:1]
	v_not_b32_e32 v0, v1
	v_ashrrev_i32_e32 v0, 31, v0
	v_xor_b32_e32 v1, vcc_hi, v0
	v_xor_b32_e32 v0, vcc_lo, v0
	v_and_b32_e32 v3, v3, v1
	v_and_b32_e32 v18, v18, v0
	;; [unrolled: 9-line block ×7, first 2 shown]
	v_mbcnt_lo_u32_b32 v2, v0, 0
	v_mbcnt_hi_u32_b32 v18, v1, v2
	v_cmp_eq_u32_e32 vcc, 0, v18
	v_cmp_ne_u64_e64 s[26:27], 0, v[0:1]
	s_and_b64 s[44:45], s[26:27], vcc
	s_and_saveexec_b64 s[26:27], s[44:45]
	s_cbranch_execz .LBB13_27
; %bb.26:                               ;   in Loop: Header=BB13_19 Depth=1
	v_bcnt_u32_b32 v0, v0, 0
	v_bcnt_u32_b32 v0, v1, v0
	s_waitcnt lgkmcnt(0)
	v_add_u32_e32 v0, v46, v0
	ds_write_b32 v47, v0
.LBB13_27:                              ;   in Loop: Header=BB13_19 Depth=1
	s_or_b64 exec, exec, s[26:27]
	; wave barrier
	s_waitcnt lgkmcnt(0)
	s_barrier
	ds_read2_b64 v[0:3], v27 offset0:2 offset1:3
	s_waitcnt lgkmcnt(0)
	v_add_u32_e32 v48, v1, v0
	v_add3_u32 v3, v48, v2, v3
	s_nop 1
	v_mov_b32_dpp v48, v3 row_shr:1 row_mask:0xf bank_mask:0xf
	v_cndmask_b32_e64 v48, v48, 0, s[0:1]
	v_add_u32_e32 v3, v48, v3
	s_nop 1
	v_mov_b32_dpp v48, v3 row_shr:2 row_mask:0xf bank_mask:0xf
	v_cndmask_b32_e64 v48, 0, v48, s[2:3]
	v_add_u32_e32 v3, v3, v48
	;; [unrolled: 4-line block ×4, first 2 shown]
	s_nop 1
	v_mov_b32_dpp v48, v3 row_bcast:15 row_mask:0xf bank_mask:0xf
	v_cndmask_b32_e64 v48, v48, 0, s[8:9]
	v_add_u32_e32 v3, v3, v48
	s_nop 1
	v_mov_b32_dpp v48, v3 row_bcast:31 row_mask:0xf bank_mask:0xf
	v_cndmask_b32_e64 v48, 0, v48, s[10:11]
	v_add_u32_e32 v3, v3, v48
	s_and_saveexec_b64 s[26:27], s[12:13]
	s_cbranch_execz .LBB13_29
; %bb.28:                               ;   in Loop: Header=BB13_19 Depth=1
	ds_write_b32 v31, v3
.LBB13_29:                              ;   in Loop: Header=BB13_19 Depth=1
	s_or_b64 exec, exec, s[26:27]
	s_waitcnt lgkmcnt(0)
	s_barrier
	s_and_saveexec_b64 s[26:27], s[14:15]
	s_cbranch_execz .LBB13_31
; %bb.30:                               ;   in Loop: Header=BB13_19 Depth=1
	ds_read_b32 v48, v37
	s_waitcnt lgkmcnt(0)
	s_nop 0
	v_mov_b32_dpp v49, v48 row_shr:1 row_mask:0xf bank_mask:0xf
	v_cndmask_b32_e64 v49, v49, 0, s[22:23]
	v_add_u32_e32 v48, v49, v48
	s_nop 1
	v_mov_b32_dpp v49, v48 row_shr:2 row_mask:0xf bank_mask:0xf
	v_cndmask_b32_e64 v49, 0, v49, s[24:25]
	v_add_u32_e32 v48, v48, v49
	ds_write_b32 v37, v48
.LBB13_31:                              ;   in Loop: Header=BB13_19 Depth=1
	s_or_b64 exec, exec, s[26:27]
	v_mov_b32_e32 v48, 0
	s_waitcnt lgkmcnt(0)
	s_barrier
	s_and_saveexec_b64 s[26:27], s[16:17]
	s_cbranch_execz .LBB13_33
; %bb.32:                               ;   in Loop: Header=BB13_19 Depth=1
	ds_read_b32 v48, v32
.LBB13_33:                              ;   in Loop: Header=BB13_19 Depth=1
	s_or_b64 exec, exec, s[26:27]
	s_waitcnt lgkmcnt(0)
	v_add_u32_e32 v3, v48, v3
	ds_bpermute_b32 v3, v30, v3
	s_add_i32 s36, s36, 8
	s_cmp_ge_u32 s36, s40
	s_waitcnt lgkmcnt(0)
	v_cndmask_b32_e64 v3, v3, v48, s[18:19]
	v_cndmask_b32_e64 v48, v3, 0, s[20:21]
	v_add_u32_e32 v49, v48, v0
	v_add_u32_e32 v0, v49, v1
	;; [unrolled: 1-line block ×3, first 2 shown]
	ds_write2_b64 v27, v[48:49], v[0:1] offset0:2 offset1:3
	s_waitcnt lgkmcnt(0)
	s_barrier
	ds_read_b32 v0, v20
	ds_read_b32 v1, v23
	ds_read_b32 v2, v26
	ds_read_b32 v3, v47
	s_waitcnt lgkmcnt(0)
	v_add_u32_e32 v52, v0, v21
	v_add3_u32 v51, v24, v22, v1
	v_add3_u32 v50, v28, v25, v2
	;; [unrolled: 1-line block ×3, first 2 shown]
	v_lshlrev_b32_e32 v28, 1, v52
	v_lshlrev_b32_e32 v26, 1, v51
	;; [unrolled: 1-line block ×4, first 2 shown]
	s_cbranch_scc0 .LBB13_18
; %bb.34:
                                        ; implicit-def: $sgpr36
                                        ; implicit-def: $vgpr2_vgpr3
                                        ; implicit-def: $vgpr20_vgpr21
                                        ; implicit-def: $vgpr22_vgpr23
                                        ; implicit-def: $vgpr24_vgpr25
                                        ; implicit-def: $vgpr46
                                        ; implicit-def: $vgpr47
                                        ; implicit-def: $vgpr48
                                        ; implicit-def: $vgpr49
.LBB13_35:
	v_lshlrev_b32_e32 v14, 1, v8
	s_barrier
	ds_write_b16 v28, v45
	ds_write_b16 v26, v44
	;; [unrolled: 1-line block ×4, first 2 shown]
	s_waitcnt lgkmcnt(0)
	s_barrier
	ds_read_u16 v9, v14
	ds_read_u16 v15, v14 offset:512
	ds_read_u16 v17, v14 offset:1024
	;; [unrolled: 1-line block ×3, first 2 shown]
	v_mad_u64_u32 v[2:3], s[0:1], v52, 6, v[28:29]
	s_waitcnt lgkmcnt(0)
	s_barrier
	ds_write_b64 v2, v[12:13]
	v_mad_u64_u32 v[2:3], s[0:1], v51, 6, v[26:27]
	ds_write_b64 v2, v[10:11]
	v_mad_u64_u32 v[2:3], s[0:1], v50, 6, v[18:19]
	v_mad_u64_u32 v[0:1], s[0:1], v1, 6, v[0:1]
	ds_write_b64 v2, v[6:7]
	ds_write_b64 v0, v[4:5]
	v_mad_u32_u24 v0, v8, 6, v14
	v_mov_b32_e32 v10, 0xffff8000
	v_cmp_lt_i16_e32 vcc, -1, v9
	s_waitcnt lgkmcnt(0)
	s_barrier
	ds_read2st64_b64 v[4:7], v0 offset1:4
	ds_read2st64_b64 v[0:3], v0 offset0:8 offset1:12
	v_cndmask_b32_e64 v11, v10, -1, vcc
	v_cmp_lt_i16_e32 vcc, -1, v15
	v_xor_b32_e32 v16, v11, v9
	s_add_u32 s0, s38, s34
	v_cndmask_b32_e64 v9, v10, -1, vcc
	v_cmp_lt_i16_e32 vcc, -1, v17
	v_xor_b32_e32 v13, v9, v15
	s_addc_u32 s1, s39, s35
	v_cndmask_b32_e64 v9, v10, -1, vcc
	v_cmp_lt_i16_e32 vcc, -1, v19
	v_xor_b32_e32 v12, v9, v17
	v_mov_b32_e32 v15, 0
	v_cndmask_b32_e64 v9, v10, -1, vcc
	v_xor_b32_e32 v9, v9, v19
	v_lshl_add_u64 v[10:11], s[0:1], 0, v[14:15]
	s_andn2_b64 vcc, exec, s[30:31]
	v_lshlrev_b32_e32 v14, 3, v8
	s_cbranch_vccnz .LBB13_37
; %bb.36:
	s_lshl_b64 s[0:1], s[28:29], 3
	s_add_u32 s0, s42, s0
	s_addc_u32 s1, s43, s1
	v_lshl_add_u64 v[18:19], s[0:1], 0, v[14:15]
	v_add_co_u32_e32 v18, vcc, 0x1000, v18
	global_store_short v[10:11], v16, off
	global_store_short v[10:11], v13, off offset:512
	global_store_short v[10:11], v12, off offset:1024
	;; [unrolled: 1-line block ×3, first 2 shown]
	s_waitcnt lgkmcnt(1)
	global_store_dwordx2 v14, v[4:5], s[0:1]
	global_store_dwordx2 v14, v[6:7], s[0:1] offset:2048
	v_addc_co_u32_e32 v19, vcc, 0, v19, vcc
	s_mov_b64 s[4:5], -1
	s_waitcnt lgkmcnt(0)
	global_store_dwordx2 v[18:19], v[0:1], off
	s_cbranch_execz .LBB13_38
	s_branch .LBB13_51
.LBB13_37:
	s_mov_b64 s[4:5], 0
.LBB13_38:
	v_cmp_gt_u32_e32 vcc, s33, v8
	s_and_saveexec_b64 s[0:1], vcc
	s_cbranch_execz .LBB13_40
; %bb.39:
	global_store_short v[10:11], v16, off
.LBB13_40:
	s_or_b64 exec, exec, s[0:1]
	v_add_u32_e32 v15, 0x100, v8
	v_cmp_gt_u32_e64 s[0:1], s33, v15
	s_and_saveexec_b64 s[2:3], s[0:1]
	s_cbranch_execz .LBB13_42
; %bb.41:
	global_store_short v[10:11], v13, off offset:512
.LBB13_42:
	s_or_b64 exec, exec, s[2:3]
	v_add_u32_e32 v13, 0x200, v8
	v_cmp_gt_u32_e64 s[2:3], s33, v13
	s_and_saveexec_b64 s[4:5], s[2:3]
	s_cbranch_execz .LBB13_44
; %bb.43:
	global_store_short v[10:11], v12, off offset:1024
.LBB13_44:
	s_or_b64 exec, exec, s[4:5]
	v_add_u32_e32 v8, 0x300, v8
	v_cmp_gt_u32_e64 s[4:5], s33, v8
	s_and_saveexec_b64 s[6:7], s[4:5]
	s_cbranch_execz .LBB13_46
; %bb.45:
	global_store_short v[10:11], v9, off offset:1536
.LBB13_46:
	s_or_b64 exec, exec, s[6:7]
	s_lshl_b64 s[6:7], s[28:29], 3
	s_add_u32 s6, s42, s6
	s_addc_u32 s7, s43, s7
	v_mov_b32_e32 v15, 0
	v_lshl_add_u64 v[8:9], s[6:7], 0, v[14:15]
	s_and_saveexec_b64 s[6:7], vcc
	s_cbranch_execnz .LBB13_57
; %bb.47:
	s_or_b64 exec, exec, s[6:7]
	s_and_saveexec_b64 s[6:7], s[0:1]
	s_cbranch_execnz .LBB13_58
.LBB13_48:
	s_or_b64 exec, exec, s[6:7]
	s_and_saveexec_b64 s[0:1], s[2:3]
	s_cbranch_execz .LBB13_50
.LBB13_49:
	s_waitcnt lgkmcnt(1)
	v_add_co_u32_e32 v4, vcc, 0x1000, v8
	s_nop 1
	v_addc_co_u32_e32 v5, vcc, 0, v9, vcc
	s_waitcnt lgkmcnt(0)
	global_store_dwordx2 v[4:5], v[0:1], off
.LBB13_50:
	s_or_b64 exec, exec, s[0:1]
.LBB13_51:
	s_and_saveexec_b64 s[0:1], s[4:5]
	s_cbranch_execnz .LBB13_53
; %bb.52:
	s_endpgm
.LBB13_53:
	s_lshl_b64 s[0:1], s[28:29], 3
	s_add_u32 s0, s42, s0
	s_addc_u32 s1, s43, s1
	v_mov_b32_e32 v15, 0
	s_waitcnt lgkmcnt(0)
	v_lshl_add_u64 v[0:1], s[0:1], 0, v[14:15]
	v_add_co_u32_e32 v0, vcc, 0x1000, v0
	s_nop 1
	v_addc_co_u32_e32 v1, vcc, 0, v1, vcc
	global_store_dwordx2 v[0:1], v[2:3], off offset:2048
	s_endpgm
.LBB13_54:
	global_load_dwordx2 v[2:3], v[4:5], off
	s_or_b64 exec, exec, s[8:9]
                                        ; implicit-def: $vgpr20_vgpr21
	s_and_saveexec_b64 s[8:9], s[2:3]
	s_cbranch_execz .LBB13_13
.LBB13_55:
	global_load_dwordx2 v[20:21], v[4:5], off offset:512
	s_or_b64 exec, exec, s[8:9]
                                        ; implicit-def: $vgpr22_vgpr23
	s_and_saveexec_b64 s[2:3], s[4:5]
	s_cbranch_execz .LBB13_14
.LBB13_56:
	global_load_dwordx2 v[22:23], v[4:5], off offset:1024
	s_or_b64 exec, exec, s[2:3]
                                        ; implicit-def: $vgpr24_vgpr25
	s_and_saveexec_b64 s[2:3], s[6:7]
	s_cbranch_execnz .LBB13_15
	s_branch .LBB13_16
.LBB13_57:
	s_waitcnt lgkmcnt(1)
	global_store_dwordx2 v[8:9], v[4:5], off
	s_or_b64 exec, exec, s[6:7]
	s_and_saveexec_b64 s[6:7], s[0:1]
	s_cbranch_execz .LBB13_48
.LBB13_58:
	s_waitcnt lgkmcnt(1)
	global_store_dwordx2 v[8:9], v[6:7], off offset:2048
	s_or_b64 exec, exec, s[6:7]
	s_and_saveexec_b64 s[0:1], s[2:3]
	s_cbranch_execnz .LBB13_49
	s_branch .LBB13_50
	.section	.rodata,"a",@progbits
	.p2align	6, 0x0
	.amdhsa_kernel _ZN7rocprim17ROCPRIM_304000_NS6detail28radix_sort_block_sort_kernelINS1_36wrapped_radix_sort_block_sort_configINS0_13kernel_configILj256ELj4ELj4294967295EEE12hip_bfloat16N2at4cuda3cub6detail10OpaqueTypeILi8EEEEELb0EPKS6_PS6_PKSC_PSC_NS0_19identity_decomposerEEEvT1_T2_T3_T4_jT5_jj
		.amdhsa_group_segment_fixed_size 8192
		.amdhsa_private_segment_fixed_size 0
		.amdhsa_kernarg_size 304
		.amdhsa_user_sgpr_count 2
		.amdhsa_user_sgpr_dispatch_ptr 0
		.amdhsa_user_sgpr_queue_ptr 0
		.amdhsa_user_sgpr_kernarg_segment_ptr 1
		.amdhsa_user_sgpr_dispatch_id 0
		.amdhsa_user_sgpr_kernarg_preload_length 0
		.amdhsa_user_sgpr_kernarg_preload_offset 0
		.amdhsa_user_sgpr_private_segment_size 0
		.amdhsa_uses_dynamic_stack 0
		.amdhsa_enable_private_segment 0
		.amdhsa_system_sgpr_workgroup_id_x 1
		.amdhsa_system_sgpr_workgroup_id_y 0
		.amdhsa_system_sgpr_workgroup_id_z 0
		.amdhsa_system_sgpr_workgroup_info 0
		.amdhsa_system_vgpr_workitem_id 2
		.amdhsa_next_free_vgpr 53
		.amdhsa_next_free_sgpr 48
		.amdhsa_accum_offset 56
		.amdhsa_reserve_vcc 1
		.amdhsa_float_round_mode_32 0
		.amdhsa_float_round_mode_16_64 0
		.amdhsa_float_denorm_mode_32 3
		.amdhsa_float_denorm_mode_16_64 3
		.amdhsa_dx10_clamp 1
		.amdhsa_ieee_mode 1
		.amdhsa_fp16_overflow 0
		.amdhsa_tg_split 0
		.amdhsa_exception_fp_ieee_invalid_op 0
		.amdhsa_exception_fp_denorm_src 0
		.amdhsa_exception_fp_ieee_div_zero 0
		.amdhsa_exception_fp_ieee_overflow 0
		.amdhsa_exception_fp_ieee_underflow 0
		.amdhsa_exception_fp_ieee_inexact 0
		.amdhsa_exception_int_div_zero 0
	.end_amdhsa_kernel
	.section	.text._ZN7rocprim17ROCPRIM_304000_NS6detail28radix_sort_block_sort_kernelINS1_36wrapped_radix_sort_block_sort_configINS0_13kernel_configILj256ELj4ELj4294967295EEE12hip_bfloat16N2at4cuda3cub6detail10OpaqueTypeILi8EEEEELb0EPKS6_PS6_PKSC_PSC_NS0_19identity_decomposerEEEvT1_T2_T3_T4_jT5_jj,"axG",@progbits,_ZN7rocprim17ROCPRIM_304000_NS6detail28radix_sort_block_sort_kernelINS1_36wrapped_radix_sort_block_sort_configINS0_13kernel_configILj256ELj4ELj4294967295EEE12hip_bfloat16N2at4cuda3cub6detail10OpaqueTypeILi8EEEEELb0EPKS6_PS6_PKSC_PSC_NS0_19identity_decomposerEEEvT1_T2_T3_T4_jT5_jj,comdat
.Lfunc_end13:
	.size	_ZN7rocprim17ROCPRIM_304000_NS6detail28radix_sort_block_sort_kernelINS1_36wrapped_radix_sort_block_sort_configINS0_13kernel_configILj256ELj4ELj4294967295EEE12hip_bfloat16N2at4cuda3cub6detail10OpaqueTypeILi8EEEEELb0EPKS6_PS6_PKSC_PSC_NS0_19identity_decomposerEEEvT1_T2_T3_T4_jT5_jj, .Lfunc_end13-_ZN7rocprim17ROCPRIM_304000_NS6detail28radix_sort_block_sort_kernelINS1_36wrapped_radix_sort_block_sort_configINS0_13kernel_configILj256ELj4ELj4294967295EEE12hip_bfloat16N2at4cuda3cub6detail10OpaqueTypeILi8EEEEELb0EPKS6_PS6_PKSC_PSC_NS0_19identity_decomposerEEEvT1_T2_T3_T4_jT5_jj
                                        ; -- End function
	.section	.AMDGPU.csdata,"",@progbits
; Kernel info:
; codeLenInByte = 4124
; NumSgprs: 54
; NumVgprs: 53
; NumAgprs: 0
; TotalNumVgprs: 53
; ScratchSize: 0
; MemoryBound: 0
; FloatMode: 240
; IeeeMode: 1
; LDSByteSize: 8192 bytes/workgroup (compile time only)
; SGPRBlocks: 6
; VGPRBlocks: 6
; NumSGPRsForWavesPerEU: 54
; NumVGPRsForWavesPerEU: 53
; AccumOffset: 56
; Occupancy: 8
; WaveLimiterHint : 1
; COMPUTE_PGM_RSRC2:SCRATCH_EN: 0
; COMPUTE_PGM_RSRC2:USER_SGPR: 2
; COMPUTE_PGM_RSRC2:TRAP_HANDLER: 0
; COMPUTE_PGM_RSRC2:TGID_X_EN: 1
; COMPUTE_PGM_RSRC2:TGID_Y_EN: 0
; COMPUTE_PGM_RSRC2:TGID_Z_EN: 0
; COMPUTE_PGM_RSRC2:TIDIG_COMP_CNT: 2
; COMPUTE_PGM_RSRC3_GFX90A:ACCUM_OFFSET: 13
; COMPUTE_PGM_RSRC3_GFX90A:TG_SPLIT: 0
	.section	.text._ZN7rocprim17ROCPRIM_304000_NS6detail45device_block_merge_mergepath_partition_kernelINS1_37wrapped_merge_sort_block_merge_configINS0_14default_configE12hip_bfloat16N2at4cuda3cub6detail10OpaqueTypeILi8EEEEEPS5_jNS1_19radix_merge_compareILb0ELb0ES5_NS0_19identity_decomposerEEEEEvT0_T1_jPSI_T2_SI_,"axG",@progbits,_ZN7rocprim17ROCPRIM_304000_NS6detail45device_block_merge_mergepath_partition_kernelINS1_37wrapped_merge_sort_block_merge_configINS0_14default_configE12hip_bfloat16N2at4cuda3cub6detail10OpaqueTypeILi8EEEEEPS5_jNS1_19radix_merge_compareILb0ELb0ES5_NS0_19identity_decomposerEEEEEvT0_T1_jPSI_T2_SI_,comdat
	.protected	_ZN7rocprim17ROCPRIM_304000_NS6detail45device_block_merge_mergepath_partition_kernelINS1_37wrapped_merge_sort_block_merge_configINS0_14default_configE12hip_bfloat16N2at4cuda3cub6detail10OpaqueTypeILi8EEEEEPS5_jNS1_19radix_merge_compareILb0ELb0ES5_NS0_19identity_decomposerEEEEEvT0_T1_jPSI_T2_SI_ ; -- Begin function _ZN7rocprim17ROCPRIM_304000_NS6detail45device_block_merge_mergepath_partition_kernelINS1_37wrapped_merge_sort_block_merge_configINS0_14default_configE12hip_bfloat16N2at4cuda3cub6detail10OpaqueTypeILi8EEEEEPS5_jNS1_19radix_merge_compareILb0ELb0ES5_NS0_19identity_decomposerEEEEEvT0_T1_jPSI_T2_SI_
	.globl	_ZN7rocprim17ROCPRIM_304000_NS6detail45device_block_merge_mergepath_partition_kernelINS1_37wrapped_merge_sort_block_merge_configINS0_14default_configE12hip_bfloat16N2at4cuda3cub6detail10OpaqueTypeILi8EEEEEPS5_jNS1_19radix_merge_compareILb0ELb0ES5_NS0_19identity_decomposerEEEEEvT0_T1_jPSI_T2_SI_
	.p2align	8
	.type	_ZN7rocprim17ROCPRIM_304000_NS6detail45device_block_merge_mergepath_partition_kernelINS1_37wrapped_merge_sort_block_merge_configINS0_14default_configE12hip_bfloat16N2at4cuda3cub6detail10OpaqueTypeILi8EEEEEPS5_jNS1_19radix_merge_compareILb0ELb0ES5_NS0_19identity_decomposerEEEEEvT0_T1_jPSI_T2_SI_,@function
_ZN7rocprim17ROCPRIM_304000_NS6detail45device_block_merge_mergepath_partition_kernelINS1_37wrapped_merge_sort_block_merge_configINS0_14default_configE12hip_bfloat16N2at4cuda3cub6detail10OpaqueTypeILi8EEEEEPS5_jNS1_19radix_merge_compareILb0ELb0ES5_NS0_19identity_decomposerEEEEEvT0_T1_jPSI_T2_SI_: ; @_ZN7rocprim17ROCPRIM_304000_NS6detail45device_block_merge_mergepath_partition_kernelINS1_37wrapped_merge_sort_block_merge_configINS0_14default_configE12hip_bfloat16N2at4cuda3cub6detail10OpaqueTypeILi8EEEEEPS5_jNS1_19radix_merge_compareILb0ELb0ES5_NS0_19identity_decomposerEEEEEvT0_T1_jPSI_T2_SI_
; %bb.0:
	s_load_dwordx2 s[4:5], s[0:1], 0x8
	v_lshl_or_b32 v0, s2, 7, v0
	s_waitcnt lgkmcnt(0)
	v_cmp_gt_u32_e32 vcc, s5, v0
	s_and_saveexec_b64 s[2:3], vcc
	s_cbranch_execz .LBB14_6
; %bb.1:
	s_load_dword s2, s[0:1], 0x1c
	s_waitcnt lgkmcnt(0)
	s_lshr_b32 s3, s2, 9
	s_and_b32 s3, s3, 0x7ffffe
	s_add_i32 s5, s3, -1
	s_sub_i32 s3, 0, s3
	v_and_b32_e32 v1, s3, v0
	v_and_b32_e32 v2, s5, v0
	v_lshlrev_b32_e32 v1, 10, v1
	v_lshlrev_b32_e32 v3, 10, v2
	v_min_u32_e32 v2, s4, v1
	v_add_u32_e32 v1, s2, v1
	v_min_u32_e32 v4, s4, v1
	v_add_u32_e32 v1, s2, v4
	v_min_u32_e32 v1, s4, v1
	v_sub_u32_e32 v5, v1, v2
	v_min_u32_e32 v10, v5, v3
	v_sub_u32_e32 v3, v4, v2
	v_sub_u32_e32 v1, v1, v4
	v_sub_u32_e64 v1, v10, v1 clamp
	v_min_u32_e32 v11, v10, v3
	v_cmp_lt_u32_e32 vcc, v1, v11
	s_and_saveexec_b64 s[2:3], vcc
	s_cbranch_execz .LBB14_5
; %bb.2:
	s_load_dwordx2 s[6:7], s[0:1], 0x0
	v_mov_b32_e32 v5, 0
	v_mov_b32_e32 v3, v5
	s_mov_b64 s[4:5], 0
	s_waitcnt lgkmcnt(0)
	v_lshl_add_u64 v[6:7], v[2:3], 1, s[6:7]
	v_lshl_add_u64 v[8:9], v[4:5], 1, s[6:7]
	s_movk_i32 s6, 0x8000
	v_mov_b32_e32 v3, 0xffff8000
.LBB14_3:                               ; =>This Inner Loop Header: Depth=1
	v_add_u32_e32 v4, v11, v1
	v_lshrrev_b32_e32 v16, 1, v4
	v_and_b32_e32 v4, -2, v4
	v_mov_b32_e32 v13, v5
	v_xad_u32 v12, v16, -1, v10
	v_lshl_add_u64 v[14:15], v[6:7], 0, v[4:5]
	global_load_ushort v4, v[14:15], off
	v_lshl_add_u64 v[12:13], v[12:13], 1, v[8:9]
	global_load_ushort v12, v[12:13], off
	v_add_u32_e32 v13, 1, v16
	s_waitcnt vmcnt(1)
	v_cmp_ne_u16_e32 vcc, s6, v4
	s_nop 1
	v_cndmask_b32_e32 v4, 0, v4, vcc
	s_waitcnt vmcnt(0)
	v_cmp_ne_u16_e32 vcc, s6, v12
	s_nop 1
	v_cndmask_b32_e32 v12, 0, v12, vcc
	v_cmp_lt_i16_e32 vcc, -1, v4
	s_nop 1
	v_cndmask_b32_e32 v14, -1, v3, vcc
	v_cmp_lt_i16_e32 vcc, -1, v12
	v_xor_b32_e32 v4, v14, v4
	s_nop 0
	v_cndmask_b32_e32 v14, -1, v3, vcc
	v_xor_b32_e32 v12, v14, v12
	v_cmp_gt_u16_e32 vcc, v4, v12
	s_nop 1
	v_cndmask_b32_e32 v11, v11, v16, vcc
	v_cndmask_b32_e32 v1, v13, v1, vcc
	v_cmp_ge_u32_e32 vcc, v1, v11
	s_or_b64 s[4:5], vcc, s[4:5]
	s_andn2_b64 exec, exec, s[4:5]
	s_cbranch_execnz .LBB14_3
; %bb.4:
	s_or_b64 exec, exec, s[4:5]
.LBB14_5:
	s_or_b64 exec, exec, s[2:3]
	s_load_dwordx2 s[0:1], s[0:1], 0x10
	v_add_u32_e32 v2, v1, v2
	v_mov_b32_e32 v1, 0
	s_waitcnt lgkmcnt(0)
	v_lshl_add_u64 v[0:1], v[0:1], 2, s[0:1]
	global_store_dword v[0:1], v2, off
.LBB14_6:
	s_endpgm
	.section	.rodata,"a",@progbits
	.p2align	6, 0x0
	.amdhsa_kernel _ZN7rocprim17ROCPRIM_304000_NS6detail45device_block_merge_mergepath_partition_kernelINS1_37wrapped_merge_sort_block_merge_configINS0_14default_configE12hip_bfloat16N2at4cuda3cub6detail10OpaqueTypeILi8EEEEEPS5_jNS1_19radix_merge_compareILb0ELb0ES5_NS0_19identity_decomposerEEEEEvT0_T1_jPSI_T2_SI_
		.amdhsa_group_segment_fixed_size 0
		.amdhsa_private_segment_fixed_size 0
		.amdhsa_kernarg_size 32
		.amdhsa_user_sgpr_count 2
		.amdhsa_user_sgpr_dispatch_ptr 0
		.amdhsa_user_sgpr_queue_ptr 0
		.amdhsa_user_sgpr_kernarg_segment_ptr 1
		.amdhsa_user_sgpr_dispatch_id 0
		.amdhsa_user_sgpr_kernarg_preload_length 0
		.amdhsa_user_sgpr_kernarg_preload_offset 0
		.amdhsa_user_sgpr_private_segment_size 0
		.amdhsa_uses_dynamic_stack 0
		.amdhsa_enable_private_segment 0
		.amdhsa_system_sgpr_workgroup_id_x 1
		.amdhsa_system_sgpr_workgroup_id_y 0
		.amdhsa_system_sgpr_workgroup_id_z 0
		.amdhsa_system_sgpr_workgroup_info 0
		.amdhsa_system_vgpr_workitem_id 0
		.amdhsa_next_free_vgpr 17
		.amdhsa_next_free_sgpr 8
		.amdhsa_accum_offset 20
		.amdhsa_reserve_vcc 1
		.amdhsa_float_round_mode_32 0
		.amdhsa_float_round_mode_16_64 0
		.amdhsa_float_denorm_mode_32 3
		.amdhsa_float_denorm_mode_16_64 3
		.amdhsa_dx10_clamp 1
		.amdhsa_ieee_mode 1
		.amdhsa_fp16_overflow 0
		.amdhsa_tg_split 0
		.amdhsa_exception_fp_ieee_invalid_op 0
		.amdhsa_exception_fp_denorm_src 0
		.amdhsa_exception_fp_ieee_div_zero 0
		.amdhsa_exception_fp_ieee_overflow 0
		.amdhsa_exception_fp_ieee_underflow 0
		.amdhsa_exception_fp_ieee_inexact 0
		.amdhsa_exception_int_div_zero 0
	.end_amdhsa_kernel
	.section	.text._ZN7rocprim17ROCPRIM_304000_NS6detail45device_block_merge_mergepath_partition_kernelINS1_37wrapped_merge_sort_block_merge_configINS0_14default_configE12hip_bfloat16N2at4cuda3cub6detail10OpaqueTypeILi8EEEEEPS5_jNS1_19radix_merge_compareILb0ELb0ES5_NS0_19identity_decomposerEEEEEvT0_T1_jPSI_T2_SI_,"axG",@progbits,_ZN7rocprim17ROCPRIM_304000_NS6detail45device_block_merge_mergepath_partition_kernelINS1_37wrapped_merge_sort_block_merge_configINS0_14default_configE12hip_bfloat16N2at4cuda3cub6detail10OpaqueTypeILi8EEEEEPS5_jNS1_19radix_merge_compareILb0ELb0ES5_NS0_19identity_decomposerEEEEEvT0_T1_jPSI_T2_SI_,comdat
.Lfunc_end14:
	.size	_ZN7rocprim17ROCPRIM_304000_NS6detail45device_block_merge_mergepath_partition_kernelINS1_37wrapped_merge_sort_block_merge_configINS0_14default_configE12hip_bfloat16N2at4cuda3cub6detail10OpaqueTypeILi8EEEEEPS5_jNS1_19radix_merge_compareILb0ELb0ES5_NS0_19identity_decomposerEEEEEvT0_T1_jPSI_T2_SI_, .Lfunc_end14-_ZN7rocprim17ROCPRIM_304000_NS6detail45device_block_merge_mergepath_partition_kernelINS1_37wrapped_merge_sort_block_merge_configINS0_14default_configE12hip_bfloat16N2at4cuda3cub6detail10OpaqueTypeILi8EEEEEPS5_jNS1_19radix_merge_compareILb0ELb0ES5_NS0_19identity_decomposerEEEEEvT0_T1_jPSI_T2_SI_
                                        ; -- End function
	.section	.AMDGPU.csdata,"",@progbits
; Kernel info:
; codeLenInByte = 396
; NumSgprs: 14
; NumVgprs: 17
; NumAgprs: 0
; TotalNumVgprs: 17
; ScratchSize: 0
; MemoryBound: 0
; FloatMode: 240
; IeeeMode: 1
; LDSByteSize: 0 bytes/workgroup (compile time only)
; SGPRBlocks: 1
; VGPRBlocks: 2
; NumSGPRsForWavesPerEU: 14
; NumVGPRsForWavesPerEU: 17
; AccumOffset: 20
; Occupancy: 8
; WaveLimiterHint : 0
; COMPUTE_PGM_RSRC2:SCRATCH_EN: 0
; COMPUTE_PGM_RSRC2:USER_SGPR: 2
; COMPUTE_PGM_RSRC2:TRAP_HANDLER: 0
; COMPUTE_PGM_RSRC2:TGID_X_EN: 1
; COMPUTE_PGM_RSRC2:TGID_Y_EN: 0
; COMPUTE_PGM_RSRC2:TGID_Z_EN: 0
; COMPUTE_PGM_RSRC2:TIDIG_COMP_CNT: 0
; COMPUTE_PGM_RSRC3_GFX90A:ACCUM_OFFSET: 4
; COMPUTE_PGM_RSRC3_GFX90A:TG_SPLIT: 0
	.section	.text._ZN7rocprim17ROCPRIM_304000_NS6detail35device_block_merge_mergepath_kernelINS1_37wrapped_merge_sort_block_merge_configINS0_14default_configE12hip_bfloat16N2at4cuda3cub6detail10OpaqueTypeILi8EEEEEPS5_SD_PSB_SE_jNS1_19radix_merge_compareILb0ELb0ES5_NS0_19identity_decomposerEEEEEvT0_T1_T2_T3_T4_SM_jT5_PKSM_NS1_7vsmem_tE,"axG",@progbits,_ZN7rocprim17ROCPRIM_304000_NS6detail35device_block_merge_mergepath_kernelINS1_37wrapped_merge_sort_block_merge_configINS0_14default_configE12hip_bfloat16N2at4cuda3cub6detail10OpaqueTypeILi8EEEEEPS5_SD_PSB_SE_jNS1_19radix_merge_compareILb0ELb0ES5_NS0_19identity_decomposerEEEEEvT0_T1_T2_T3_T4_SM_jT5_PKSM_NS1_7vsmem_tE,comdat
	.protected	_ZN7rocprim17ROCPRIM_304000_NS6detail35device_block_merge_mergepath_kernelINS1_37wrapped_merge_sort_block_merge_configINS0_14default_configE12hip_bfloat16N2at4cuda3cub6detail10OpaqueTypeILi8EEEEEPS5_SD_PSB_SE_jNS1_19radix_merge_compareILb0ELb0ES5_NS0_19identity_decomposerEEEEEvT0_T1_T2_T3_T4_SM_jT5_PKSM_NS1_7vsmem_tE ; -- Begin function _ZN7rocprim17ROCPRIM_304000_NS6detail35device_block_merge_mergepath_kernelINS1_37wrapped_merge_sort_block_merge_configINS0_14default_configE12hip_bfloat16N2at4cuda3cub6detail10OpaqueTypeILi8EEEEEPS5_SD_PSB_SE_jNS1_19radix_merge_compareILb0ELb0ES5_NS0_19identity_decomposerEEEEEvT0_T1_T2_T3_T4_SM_jT5_PKSM_NS1_7vsmem_tE
	.globl	_ZN7rocprim17ROCPRIM_304000_NS6detail35device_block_merge_mergepath_kernelINS1_37wrapped_merge_sort_block_merge_configINS0_14default_configE12hip_bfloat16N2at4cuda3cub6detail10OpaqueTypeILi8EEEEEPS5_SD_PSB_SE_jNS1_19radix_merge_compareILb0ELb0ES5_NS0_19identity_decomposerEEEEEvT0_T1_T2_T3_T4_SM_jT5_PKSM_NS1_7vsmem_tE
	.p2align	8
	.type	_ZN7rocprim17ROCPRIM_304000_NS6detail35device_block_merge_mergepath_kernelINS1_37wrapped_merge_sort_block_merge_configINS0_14default_configE12hip_bfloat16N2at4cuda3cub6detail10OpaqueTypeILi8EEEEEPS5_SD_PSB_SE_jNS1_19radix_merge_compareILb0ELb0ES5_NS0_19identity_decomposerEEEEEvT0_T1_T2_T3_T4_SM_jT5_PKSM_NS1_7vsmem_tE,@function
_ZN7rocprim17ROCPRIM_304000_NS6detail35device_block_merge_mergepath_kernelINS1_37wrapped_merge_sort_block_merge_configINS0_14default_configE12hip_bfloat16N2at4cuda3cub6detail10OpaqueTypeILi8EEEEEPS5_SD_PSB_SE_jNS1_19radix_merge_compareILb0ELb0ES5_NS0_19identity_decomposerEEEEEvT0_T1_T2_T3_T4_SM_jT5_PKSM_NS1_7vsmem_tE: ; @_ZN7rocprim17ROCPRIM_304000_NS6detail35device_block_merge_mergepath_kernelINS1_37wrapped_merge_sort_block_merge_configINS0_14default_configE12hip_bfloat16N2at4cuda3cub6detail10OpaqueTypeILi8EEEEEPS5_SD_PSB_SE_jNS1_19radix_merge_compareILb0ELb0ES5_NS0_19identity_decomposerEEEEEvT0_T1_T2_T3_T4_SM_jT5_PKSM_NS1_7vsmem_tE
; %bb.0:
	s_load_dwordx2 s[26:27], s[0:1], 0x40
	s_load_dwordx4 s[12:15], s[0:1], 0x20
	s_add_u32 s24, s0, 64
	s_addc_u32 s25, s1, 0
	s_waitcnt lgkmcnt(0)
	s_mul_i32 s4, s27, s4
	s_add_i32 s3, s4, s3
	s_mul_i32 s3, s3, s26
	s_add_i32 s22, s3, s2
	s_cmp_ge_u32 s22, s14
	s_cbranch_scc1 .LBB15_91
; %bb.1:
	s_load_dwordx8 s[4:11], s[0:1], 0x0
	s_load_dwordx2 s[14:15], s[0:1], 0x30
	s_lshr_b32 s27, s12, 10
	s_cmp_lg_u32 s22, s27
	s_mov_b32 s23, 0
	s_cselect_b64 s[16:17], -1, 0
	s_lshl_b64 s[0:1], s[22:23], 2
	s_waitcnt lgkmcnt(0)
	s_add_u32 s0, s14, s0
	s_addc_u32 s1, s15, s1
	s_load_dwordx2 s[18:19], s[0:1], 0x0
	s_lshr_b32 s0, s13, 9
	s_and_b32 s0, s0, 0x7ffffe
	s_sub_i32 s0, 0, s0
	s_and_b32 s1, s22, s0
	s_lshl_b32 s3, s1, 10
	s_lshl_b32 s14, s22, 10
	;; [unrolled: 1-line block ×3, first 2 shown]
	s_sub_i32 s15, s14, s3
	s_add_i32 s1, s1, s13
	s_add_i32 s15, s1, s15
	s_waitcnt lgkmcnt(0)
	s_sub_i32 s20, s15, s18
	s_sub_i32 s15, s15, s19
	;; [unrolled: 1-line block ×3, first 2 shown]
	s_min_u32 s20, s12, s20
	s_addk_i32 s15, 0x400
	s_or_b32 s0, s22, s0
	s_min_u32 s3, s12, s1
	s_add_i32 s1, s1, s13
	s_cmp_eq_u32 s0, -1
	s_cselect_b32 s0, s1, s15
	s_cselect_b32 s1, s3, s19
	s_min_u32 s0, s0, s12
	s_mov_b32 s19, s23
	s_sub_i32 s13, s1, s18
	s_sub_i32 s15, s0, s20
	s_lshl_b64 s[0:1], s[18:19], 1
	s_add_u32 s0, s4, s0
	s_mov_b32 s21, s23
	s_addc_u32 s1, s5, s1
	s_lshl_b64 s[28:29], s[20:21], 1
	s_add_u32 s4, s4, s28
	s_addc_u32 s5, s5, s29
	s_cmp_lt_u32 s2, s26
	v_mov_b32_e32 v3, 0
	s_cselect_b32 s2, 12, 18
	global_load_dword v1, v3, s[24:25] offset:14
	s_add_u32 s2, s24, s2
	s_addc_u32 s3, s25, 0
	global_load_ushort v2, v3, s[2:3]
	v_cmp_gt_u32_e32 vcc, s13, v0
	s_cmp_eq_u32 s22, s27
	s_waitcnt vmcnt(1)
	v_lshrrev_b32_e32 v4, 16, v1
	v_and_b32_e32 v1, 0xffff, v1
	v_mul_lo_u32 v1, v1, v4
	s_waitcnt vmcnt(0)
	v_mul_lo_u32 v11, v1, v2
	v_add_u32_e32 v6, v11, v0
	v_lshlrev_b32_e32 v2, 1, v0
	v_add_u32_e32 v4, v6, v11
	s_cbranch_scc1 .LBB15_3
; %bb.2:
	v_subrev_u32_e32 v12, s13, v0
	v_mov_b32_e32 v13, v3
	v_lshl_add_u64 v[8:9], s[0:1], 0, v[2:3]
	v_lshl_add_u64 v[12:13], v[12:13], 1, s[4:5]
	v_cndmask_b32_e32 v9, v13, v9, vcc
	v_cndmask_b32_e32 v8, v12, v8, vcc
	v_mov_b32_e32 v7, v3
	v_subrev_u32_e32 v12, s13, v6
	v_mov_b32_e32 v13, v3
	global_load_ushort v1, v[8:9], off
	v_lshl_add_u64 v[8:9], v[6:7], 1, s[0:1]
	v_lshl_add_u64 v[12:13], v[12:13], 1, s[4:5]
	v_cmp_gt_u32_e32 vcc, s13, v6
	v_mov_b32_e32 v5, v3
	v_mov_b32_e32 v17, v3
	v_cndmask_b32_e32 v9, v13, v9, vcc
	v_cndmask_b32_e32 v8, v12, v8, vcc
	v_subrev_u32_e32 v12, s13, v4
	v_mov_b32_e32 v13, v3
	global_load_ushort v10, v[8:9], off
	v_lshl_add_u64 v[8:9], v[4:5], 1, s[0:1]
	v_lshl_add_u64 v[12:13], v[12:13], 1, s[4:5]
	v_cmp_gt_u32_e32 vcc, s13, v4
	s_add_i32 s24, s15, s13
	s_nop 0
	v_cndmask_b32_e32 v9, v13, v9, vcc
	v_cndmask_b32_e32 v8, v12, v8, vcc
	global_load_ushort v12, v[8:9], off
	v_add_u32_e32 v8, v4, v11
	v_mov_b32_e32 v9, v3
	v_subrev_u32_e32 v16, s13, v8
	v_lshl_add_u64 v[14:15], v[8:9], 1, s[0:1]
	v_lshl_add_u64 v[16:17], v[16:17], 1, s[4:5]
	v_cmp_gt_u32_e32 vcc, s13, v8
	s_mov_b64 s[2:3], -1
	s_nop 0
	v_cndmask_b32_e32 v9, v17, v15, vcc
	v_cndmask_b32_e32 v8, v16, v14, vcc
	s_cbranch_execz .LBB15_4
	s_branch .LBB15_13
.LBB15_3:
	s_mov_b64 s[2:3], 0
                                        ; implicit-def: $vgpr8_vgpr9
                                        ; implicit-def: $vgpr12
                                        ; implicit-def: $vgpr10
                                        ; implicit-def: $vgpr1
                                        ; implicit-def: $sgpr24
.LBB15_4:
	s_add_i32 s24, s15, s13
	v_cmp_gt_u32_e32 vcc, s24, v0
                                        ; implicit-def: $vgpr1
	s_and_saveexec_b64 s[22:23], vcc
	s_cbranch_execz .LBB15_6
; %bb.5:
	v_mov_b32_e32 v3, 0
	s_waitcnt vmcnt(0)
	v_subrev_u32_e32 v12, s13, v0
	v_mov_b32_e32 v13, v3
	v_lshl_add_u64 v[8:9], s[0:1], 0, v[2:3]
	v_lshl_add_u64 v[12:13], v[12:13], 1, s[4:5]
	v_cmp_gt_u32_e32 vcc, s13, v0
	s_nop 1
	v_cndmask_b32_e32 v9, v13, v9, vcc
	v_cndmask_b32_e32 v8, v12, v8, vcc
	global_load_ushort v1, v[8:9], off
.LBB15_6:
	s_or_b64 exec, exec, s[22:23]
	v_cmp_gt_u32_e32 vcc, s24, v6
                                        ; implicit-def: $vgpr10
	s_and_saveexec_b64 s[22:23], vcc
	s_cbranch_execz .LBB15_8
; %bb.7:
	v_mov_b32_e32 v7, 0
	v_lshl_add_u64 v[8:9], v[6:7], 1, s[0:1]
	v_cmp_gt_u32_e32 vcc, s13, v6
	v_subrev_u32_e32 v6, s13, v6
	v_lshl_add_u64 v[6:7], v[6:7], 1, s[4:5]
	v_cndmask_b32_e32 v7, v7, v9, vcc
	v_cndmask_b32_e32 v6, v6, v8, vcc
	global_load_ushort v10, v[6:7], off
.LBB15_8:
	s_or_b64 exec, exec, s[22:23]
	v_cmp_gt_u32_e32 vcc, s24, v4
                                        ; implicit-def: $vgpr12
	s_and_saveexec_b64 s[22:23], vcc
	s_cbranch_execz .LBB15_10
; %bb.9:
	v_mov_b32_e32 v5, 0
	v_subrev_u32_e32 v8, s13, v4
	v_mov_b32_e32 v9, v5
	v_lshl_add_u64 v[6:7], v[4:5], 1, s[0:1]
	v_lshl_add_u64 v[8:9], v[8:9], 1, s[4:5]
	v_cmp_gt_u32_e32 vcc, s13, v4
	s_nop 1
	v_cndmask_b32_e32 v7, v9, v7, vcc
	v_cndmask_b32_e32 v6, v8, v6, vcc
	global_load_ushort v12, v[6:7], off
.LBB15_10:
	s_or_b64 exec, exec, s[22:23]
	v_add_u32_e32 v4, v4, v11
	v_cmp_gt_u32_e32 vcc, s24, v4
                                        ; implicit-def: $vgpr8_vgpr9
	s_and_saveexec_b64 s[22:23], vcc
; %bb.11:
	v_mov_b32_e32 v5, 0
	v_lshl_add_u64 v[6:7], v[4:5], 1, s[0:1]
	v_cmp_gt_u32_e32 vcc, s13, v4
	v_subrev_u32_e32 v4, s13, v4
	v_lshl_add_u64 v[4:5], v[4:5], 1, s[4:5]
	v_cndmask_b32_e32 v9, v5, v7, vcc
	v_cndmask_b32_e32 v8, v4, v6, vcc
	s_or_b64 s[2:3], s[2:3], exec
; %bb.12:
	s_or_b64 exec, exec, s[22:23]
.LBB15_13:
	v_mov_b32_e32 v11, s24
                                        ; implicit-def: $vgpr13
	s_and_saveexec_b64 s[0:1], s[2:3]
	s_cbranch_execz .LBB15_15
; %bb.14:
	global_load_ushort v13, v[8:9], off
	v_mov_b32_e32 v11, s24
.LBB15_15:
	s_or_b64 exec, exec, s[0:1]
	v_lshlrev_b32_e32 v3, 2, v0
	v_min_u32_e32 v4, v11, v3
	v_sub_u32_e64 v5, v4, s15 clamp
	v_min_u32_e32 v6, s13, v4
	v_cmp_lt_u32_e32 vcc, v5, v6
	s_waitcnt vmcnt(0)
	ds_write_b16 v2, v1
	ds_write_b16 v2, v10 offset:512
	ds_write_b16 v2, v12 offset:1024
	;; [unrolled: 1-line block ×3, first 2 shown]
	s_waitcnt lgkmcnt(0)
	s_barrier
	s_and_saveexec_b64 s[0:1], vcc
	s_cbranch_execz .LBB15_19
; %bb.16:
	v_lshlrev_b32_e32 v7, 1, v4
	v_lshl_add_u32 v7, s13, 1, v7
	s_mov_b64 s[2:3], 0
	s_movk_i32 s4, 0x8000
	v_mov_b32_e32 v8, 0xffff8000
.LBB15_17:                              ; =>This Inner Loop Header: Depth=1
	v_add_u32_e32 v9, v6, v5
	v_lshrrev_b32_e32 v14, 1, v9
	v_and_b32_e32 v9, -2, v9
	ds_read_u16 v9, v9
	v_not_b32_e32 v15, v14
	v_lshl_add_u32 v15, v15, 1, v7
	ds_read_u16 v15, v15
	v_add_u32_e32 v16, 1, v14
	s_waitcnt lgkmcnt(1)
	v_cmp_ne_u16_e32 vcc, s4, v9
	s_nop 1
	v_cndmask_b32_e32 v9, 0, v9, vcc
	v_cmp_lt_i16_e32 vcc, -1, v9
	s_nop 1
	v_cndmask_b32_e32 v17, -1, v8, vcc
	s_waitcnt lgkmcnt(0)
	v_cmp_ne_u16_e32 vcc, s4, v15
	v_xor_b32_e32 v9, v17, v9
	s_nop 0
	v_cndmask_b32_e32 v15, 0, v15, vcc
	v_cmp_lt_i16_e32 vcc, -1, v15
	s_nop 1
	v_cndmask_b32_e32 v17, -1, v8, vcc
	v_xor_b32_e32 v15, v17, v15
	v_cmp_gt_u16_e32 vcc, v9, v15
	s_nop 1
	v_cndmask_b32_e32 v6, v6, v14, vcc
	v_cndmask_b32_e32 v5, v16, v5, vcc
	v_cmp_ge_u32_e32 vcc, v5, v6
	s_or_b64 s[2:3], vcc, s[2:3]
	s_andn2_b64 exec, exec, s[2:3]
	s_cbranch_execnz .LBB15_17
; %bb.18:
	s_or_b64 exec, exec, s[2:3]
.LBB15_19:
	s_or_b64 exec, exec, s[0:1]
	v_sub_u32_e32 v4, v4, v5
	v_add_u32_e32 v6, s13, v4
	v_cmp_ge_u32_e32 vcc, s13, v5
	v_cmp_le_u32_e64 s[0:1], v6, v11
	s_or_b64 s[0:1], vcc, s[0:1]
                                        ; implicit-def: $vgpr15
                                        ; implicit-def: $vgpr14
                                        ; implicit-def: $vgpr9
                                        ; implicit-def: $vgpr8
	s_and_saveexec_b64 s[2:3], s[0:1]
	s_cbranch_execz .LBB15_39
; %bb.20:
	v_cmp_le_u32_e32 vcc, s13, v5
	v_cmp_gt_u32_e64 s[0:1], s13, v5
                                        ; implicit-def: $vgpr1
	s_and_saveexec_b64 s[4:5], s[0:1]
	s_cbranch_execz .LBB15_22
; %bb.21:
	v_lshlrev_b32_e32 v1, 1, v5
	ds_read_u16 v1, v1
.LBB15_22:
	s_or_b64 exec, exec, s[4:5]
	v_cmp_ge_u32_e64 s[4:5], v6, v11
	v_cmp_lt_u32_e64 s[0:1], v6, v11
                                        ; implicit-def: $vgpr4
	s_and_saveexec_b64 s[22:23], s[0:1]
	s_cbranch_execz .LBB15_24
; %bb.23:
	v_lshlrev_b32_e32 v4, 1, v6
	ds_read_u16 v4, v4
.LBB15_24:
	s_or_b64 exec, exec, s[22:23]
	s_or_b64 s[22:23], vcc, s[4:5]
	s_mov_b64 s[0:1], -1
	s_xor_b64 s[24:25], s[22:23], -1
	s_and_saveexec_b64 s[22:23], s[24:25]
	s_cbranch_execz .LBB15_26
; %bb.25:
	s_movk_i32 s24, 0x8000
	s_waitcnt lgkmcnt(0)
	v_cmp_ne_u16_e32 vcc, s24, v1
	v_mov_b32_e32 v9, 0xffff8000
	s_andn2_b64 s[4:5], s[4:5], exec
	v_cndmask_b32_e32 v7, 0, v1, vcc
	v_cmp_ne_u16_e32 vcc, s24, v4
	s_nop 1
	v_cndmask_b32_e32 v8, 0, v4, vcc
	v_cmp_lt_i16_e32 vcc, -1, v7
	s_nop 1
	v_cndmask_b32_e32 v10, -1, v9, vcc
	v_cmp_lt_i16_e32 vcc, -1, v8
	v_xor_b32_e32 v7, v10, v7
	s_nop 0
	v_cndmask_b32_e32 v9, -1, v9, vcc
	v_xor_b32_e32 v8, v9, v8
	v_cmp_le_u16_e32 vcc, v7, v8
	s_and_b64 s[24:25], vcc, exec
	s_or_b64 s[4:5], s[4:5], s[24:25]
.LBB15_26:
	s_or_b64 exec, exec, s[22:23]
	v_mov_b32_e32 v7, s13
	v_cndmask_b32_e64 v8, v6, v5, s[4:5]
	v_cndmask_b32_e64 v7, v11, v7, s[4:5]
	v_add_u32_e32 v9, 1, v8
	v_add_u32_e32 v7, -1, v7
	v_min_u32_e32 v7, v9, v7
	v_lshlrev_b32_e32 v7, 1, v7
	ds_read_u16 v7, v7
	v_cndmask_b32_e64 v10, v9, v6, s[4:5]
	v_cndmask_b32_e64 v13, v5, v9, s[4:5]
	v_cmp_lt_u32_e32 vcc, v10, v11
	s_waitcnt lgkmcnt(0)
	v_cndmask_b32_e64 v6, v7, v4, s[4:5]
	v_cndmask_b32_e64 v7, v1, v7, s[4:5]
	s_and_saveexec_b64 s[22:23], vcc
	s_cbranch_execz .LBB15_30
; %bb.27:
	v_cmp_gt_u32_e32 vcc, s13, v13
	s_mov_b64 s[24:25], 0
	s_and_saveexec_b64 s[0:1], vcc
	s_cbranch_execz .LBB15_29
; %bb.28:
	s_movk_i32 s24, 0x8000
	v_cmp_ne_u16_e32 vcc, s24, v7
	v_mov_b32_e32 v12, 0xffff8000
	s_nop 0
	v_cndmask_b32_e32 v5, 0, v7, vcc
	v_cmp_ne_u16_e32 vcc, s24, v6
	s_nop 1
	v_cndmask_b32_e32 v9, 0, v6, vcc
	v_cmp_lt_i16_e32 vcc, -1, v5
	s_nop 1
	v_cndmask_b32_e32 v14, -1, v12, vcc
	v_cmp_lt_i16_e32 vcc, -1, v9
	v_xor_b32_e32 v5, v14, v5
	s_nop 0
	v_cndmask_b32_e32 v12, -1, v12, vcc
	v_xor_b32_e32 v9, v12, v9
	v_cmp_le_u16_e32 vcc, v5, v9
	s_and_b64 s[24:25], vcc, exec
.LBB15_29:
	s_or_b64 exec, exec, s[0:1]
	s_orn2_b64 s[0:1], s[24:25], exec
.LBB15_30:
	s_or_b64 exec, exec, s[22:23]
	v_mov_b32_e32 v5, s13
	v_cndmask_b32_e64 v9, v10, v13, s[0:1]
	v_cndmask_b32_e64 v5, v11, v5, s[0:1]
	v_add_u32_e32 v14, 1, v9
	v_add_u32_e32 v5, -1, v5
	v_min_u32_e32 v5, v14, v5
	v_lshlrev_b32_e32 v5, 1, v5
	ds_read_u16 v15, v5
	v_cndmask_b32_e64 v12, v14, v10, s[0:1]
	v_cndmask_b32_e64 v13, v13, v14, s[0:1]
	v_cmp_lt_u32_e32 vcc, v12, v11
	s_mov_b64 s[22:23], -1
	s_waitcnt lgkmcnt(0)
	v_cndmask_b32_e64 v5, v15, v6, s[0:1]
	v_cndmask_b32_e64 v10, v7, v15, s[0:1]
	s_mov_b64 s[24:25], -1
	s_and_saveexec_b64 s[26:27], vcc
	s_cbranch_execz .LBB15_34
; %bb.31:
	v_cmp_gt_u32_e32 vcc, s13, v13
	s_mov_b64 s[28:29], 0
	s_and_saveexec_b64 s[24:25], vcc
	s_cbranch_execz .LBB15_33
; %bb.32:
	s_movk_i32 s28, 0x8000
	v_cmp_ne_u16_e32 vcc, s28, v10
	v_mov_b32_e32 v16, 0xffff8000
	s_nop 0
	v_cndmask_b32_e32 v14, 0, v10, vcc
	v_cmp_ne_u16_e32 vcc, s28, v5
	s_nop 1
	v_cndmask_b32_e32 v15, 0, v5, vcc
	v_cmp_lt_i16_e32 vcc, -1, v14
	s_nop 1
	v_cndmask_b32_e32 v17, -1, v16, vcc
	v_cmp_lt_i16_e32 vcc, -1, v15
	v_xor_b32_e32 v14, v17, v14
	s_nop 0
	v_cndmask_b32_e32 v16, -1, v16, vcc
	v_xor_b32_e32 v15, v16, v15
	v_cmp_le_u16_e32 vcc, v14, v15
	s_and_b64 s[28:29], vcc, exec
.LBB15_33:
	s_or_b64 exec, exec, s[24:25]
	s_orn2_b64 s[24:25], s[28:29], exec
.LBB15_34:
	s_or_b64 exec, exec, s[26:27]
	v_mov_b32_e32 v15, s13
	v_cndmask_b32_e64 v14, v12, v13, s[24:25]
	v_cndmask_b32_e64 v15, v11, v15, s[24:25]
	v_add_u32_e32 v18, 1, v14
	v_add_u32_e32 v15, -1, v15
	v_min_u32_e32 v15, v18, v15
	v_lshlrev_b32_e32 v15, 1, v15
	ds_read_u16 v17, v15
	v_cndmask_b32_e64 v15, v18, v12, s[24:25]
	v_cndmask_b32_e64 v13, v13, v18, s[24:25]
	v_cmp_lt_u32_e32 vcc, v15, v11
	s_waitcnt lgkmcnt(0)
	v_cndmask_b32_e64 v16, v17, v5, s[24:25]
	v_cndmask_b32_e64 v17, v10, v17, s[24:25]
	s_and_saveexec_b64 s[26:27], vcc
	s_cbranch_execz .LBB15_38
; %bb.35:
	v_cmp_gt_u32_e32 vcc, s13, v13
	s_mov_b64 s[28:29], 0
	s_and_saveexec_b64 s[22:23], vcc
	s_cbranch_execz .LBB15_37
; %bb.36:
	s_movk_i32 s28, 0x8000
	v_cmp_ne_u16_e32 vcc, s28, v17
	v_mov_b32_e32 v19, 0xffff8000
	s_nop 0
	v_cndmask_b32_e32 v12, 0, v17, vcc
	v_cmp_ne_u16_e32 vcc, s28, v16
	s_nop 1
	v_cndmask_b32_e32 v18, 0, v16, vcc
	v_cmp_lt_i16_e32 vcc, -1, v12
	s_nop 1
	v_cndmask_b32_e32 v20, -1, v19, vcc
	v_cmp_lt_i16_e32 vcc, -1, v18
	v_xor_b32_e32 v12, v20, v12
	s_nop 0
	v_cndmask_b32_e32 v19, -1, v19, vcc
	v_xor_b32_e32 v18, v19, v18
	v_cmp_le_u16_e32 vcc, v12, v18
	s_and_b64 s[28:29], vcc, exec
.LBB15_37:
	s_or_b64 exec, exec, s[22:23]
	s_orn2_b64 s[22:23], s[28:29], exec
.LBB15_38:
	s_or_b64 exec, exec, s[26:27]
	v_cndmask_b32_e64 v12, v5, v10, s[24:25]
	v_cndmask_b32_e64 v10, v6, v7, s[0:1]
	v_cndmask_b32_e64 v1, v4, v1, s[4:5]
	v_cndmask_b32_e64 v15, v15, v13, s[22:23]
	v_cndmask_b32_e64 v13, v16, v17, s[22:23]
.LBB15_39:
	s_or_b64 exec, exec, s[2:3]
	s_lshl_b64 s[0:1], s[18:19], 3
	s_add_u32 s22, s8, s0
	s_addc_u32 s23, s9, s1
	s_lshl_b64 s[0:1], s[20:21], 3
	s_add_u32 s24, s8, s0
	v_cndmask_b32_e64 v4, 0, 1, s[16:17]
	s_addc_u32 s25, s9, s1
	v_cmp_gt_u32_e64 s[4:5], s13, v0
	v_cmp_ne_u32_e64 s[0:1], 1, v4
	s_andn2_b64 vcc, exec, s[16:17]
	v_cmp_le_u32_e64 s[2:3], s13, v0
	s_barrier
	s_cbranch_vccnz .LBB15_41
; %bb.40:
	v_subrev_u32_e32 v6, s13, v0
	v_mov_b32_e32 v7, 0
	v_lshl_add_u64 v[4:5], v[6:7], 3, s[24:25]
	v_lshlrev_b32_e32 v6, 3, v0
	v_lshl_add_u64 v[18:19], s[22:23], 0, v[6:7]
	v_or_b32_e32 v22, 0x100, v0
	v_cndmask_b32_e64 v5, v5, v19, s[4:5]
	v_cndmask_b32_e64 v4, v4, v18, s[4:5]
	s_mov_b64 s[4:5], 0x800
	v_subrev_u32_e32 v16, s13, v22
	v_mov_b32_e32 v17, v7
	global_load_dwordx2 v[20:21], v[4:5], off
	v_lshl_add_u64 v[4:5], v[18:19], 0, s[4:5]
	v_lshl_add_u64 v[16:17], v[16:17], 3, s[24:25]
	v_cmp_gt_u32_e32 vcc, s13, v22
	v_or_b32_e32 v24, 0x200, v0
	s_mov_b64 s[4:5], 0x1000
	v_cndmask_b32_e32 v5, v17, v5, vcc
	v_cndmask_b32_e32 v4, v16, v4, vcc
	v_subrev_u32_e32 v16, s13, v24
	v_mov_b32_e32 v17, v7
	global_load_dwordx2 v[22:23], v[4:5], off
	v_lshl_add_u64 v[4:5], v[18:19], 0, s[4:5]
	v_lshl_add_u64 v[16:17], v[16:17], 3, s[24:25]
	v_cmp_gt_u32_e32 vcc, s13, v24
	s_mov_b64 s[4:5], 0x1800
	v_lshl_add_u64 v[18:19], v[18:19], 0, s[4:5]
	v_cndmask_b32_e32 v5, v17, v5, vcc
	v_cndmask_b32_e32 v4, v16, v4, vcc
	global_load_dwordx2 v[24:25], v[4:5], off
	v_or_b32_e32 v17, 0x300, v0
	v_subrev_u32_e32 v4, s13, v17
	v_mov_b32_e32 v5, v7
	v_lshl_add_u64 v[4:5], v[4:5], 3, s[24:25]
	v_cmp_gt_u32_e32 vcc, s13, v17
	v_or_b32_e32 v16, 0x1800, v6
	s_nop 0
	v_cndmask_b32_e32 v5, v5, v19, vcc
	v_cndmask_b32_e32 v4, v4, v18, vcc
	s_mov_b64 s[4:5], -1
	s_waitcnt vmcnt(1)
	ds_write2st64_b64 v6, v[20:21], v[22:23] offset1:4
	s_waitcnt vmcnt(0)
	ds_write_b64 v6, v[24:25] offset:4096
	s_cbranch_execz .LBB15_42
	s_branch .LBB15_63
.LBB15_41:
	s_mov_b64 s[4:5], 0
                                        ; implicit-def: $vgpr16
                                        ; implicit-def: $vgpr4_vgpr5
.LBB15_42:
	s_mov_b64 s[26:27], 0
                                        ; implicit-def: $vgpr4_vgpr5
	s_and_saveexec_b64 s[28:29], s[2:3]
	s_xor_b64 s[2:3], exec, s[28:29]
	s_cbranch_execz .LBB15_67
; %bb.43:
	v_subrev_u32_e32 v6, s13, v0
	v_cmp_gt_u32_e32 vcc, s15, v6
                                        ; implicit-def: $vgpr4_vgpr5
	s_and_saveexec_b64 s[28:29], vcc
	s_xor_b64 s[28:29], exec, s[28:29]
; %bb.44:
	v_mov_b32_e32 v7, 0
	s_mov_b64 s[26:27], exec
	v_lshl_add_u64 v[4:5], v[6:7], 3, s[24:25]
; %bb.45:
	s_or_b64 exec, exec, s[28:29]
	s_and_b64 s[26:27], s[26:27], exec
	s_andn2_saveexec_b64 s[2:3], s[2:3]
	s_cbranch_execnz .LBB15_68
.LBB15_46:
	s_or_b64 exec, exec, s[2:3]
	v_mad_u32_u24 v16, v0, 6, v2
	s_and_saveexec_b64 s[2:3], s[26:27]
	s_cbranch_execz .LBB15_48
.LBB15_47:
	global_load_dwordx2 v[4:5], v[4:5], off
	s_waitcnt vmcnt(0)
	ds_write_b64 v16, v[4:5]
.LBB15_48:
	s_or_b64 exec, exec, s[2:3]
	v_or_b32_e32 v4, 0x100, v0
	v_cmp_le_u32_e32 vcc, s13, v4
	s_mov_b64 s[2:3], -1
	v_mov_b64_e32 v[6:7], s[18:19]
	s_and_saveexec_b64 s[26:27], vcc
; %bb.49:
	v_subrev_u32_e32 v4, s13, v4
	v_cmp_gt_u32_e32 vcc, s15, v4
	v_mov_b64_e32 v[6:7], s[20:21]
	s_orn2_b64 s[2:3], vcc, exec
; %bb.50:
	s_or_b64 exec, exec, s[26:27]
	s_and_saveexec_b64 s[26:27], s[2:3]
	s_cbranch_execz .LBB15_52
; %bb.51:
	v_lshl_add_u64 v[6:7], v[6:7], 3, s[8:9]
	v_mov_b32_e32 v5, 0
	v_lshl_add_u64 v[4:5], v[4:5], 3, v[6:7]
	global_load_dwordx2 v[4:5], v[4:5], off
	s_waitcnt vmcnt(0)
	ds_write_b64 v16, v[4:5] offset:2048
.LBB15_52:
	s_or_b64 exec, exec, s[26:27]
	v_or_b32_e32 v4, 0x200, v0
	v_cmp_le_u32_e32 vcc, s13, v4
	s_mov_b64 s[2:3], -1
	v_mov_b64_e32 v[6:7], s[18:19]
	s_and_saveexec_b64 s[18:19], vcc
; %bb.53:
	v_subrev_u32_e32 v4, s13, v4
	v_cmp_gt_u32_e32 vcc, s15, v4
	v_mov_b64_e32 v[6:7], s[20:21]
	s_orn2_b64 s[2:3], vcc, exec
; %bb.54:
	s_or_b64 exec, exec, s[18:19]
	s_and_saveexec_b64 s[18:19], s[2:3]
	s_cbranch_execz .LBB15_56
; %bb.55:
	v_lshl_add_u64 v[6:7], v[6:7], 3, s[8:9]
	v_mov_b32_e32 v5, 0
	v_lshl_add_u64 v[4:5], v[4:5], 3, v[6:7]
	global_load_dwordx2 v[4:5], v[4:5], off
	s_waitcnt vmcnt(0)
	ds_write_b64 v16, v[4:5] offset:4096
.LBB15_56:
	s_or_b64 exec, exec, s[18:19]
	v_or_b32_e32 v6, 0x300, v0
	v_cmp_le_u32_e32 vcc, s13, v6
                                        ; implicit-def: $vgpr16
                                        ; implicit-def: $vgpr4_vgpr5
	s_and_saveexec_b64 s[2:3], vcc
	s_xor_b64 s[2:3], exec, s[2:3]
	s_cbranch_execz .LBB15_60
; %bb.57:
	v_subrev_u32_e32 v6, s13, v6
	v_cmp_gt_u32_e32 vcc, s15, v6
	s_mov_b64 s[18:19], s[4:5]
                                        ; implicit-def: $vgpr16
                                        ; implicit-def: $vgpr4_vgpr5
	s_and_saveexec_b64 s[8:9], vcc
; %bb.58:
	v_mul_u32_u24_e32 v4, 6, v0
	s_movk_i32 s13, 0x1800
	v_mov_b32_e32 v7, 0
	v_add3_u32 v16, v2, v4, s13
	v_lshl_add_u64 v[4:5], v[6:7], 3, s[24:25]
	s_or_b64 s[18:19], s[4:5], exec
; %bb.59:
	s_or_b64 exec, exec, s[8:9]
	s_andn2_b64 s[4:5], s[4:5], exec
	s_and_b64 s[8:9], s[18:19], exec
	s_or_b64 s[4:5], s[4:5], s[8:9]
                                        ; implicit-def: $vgpr6
.LBB15_60:
	s_andn2_saveexec_b64 s[2:3], s[2:3]
; %bb.61:
	v_lshlrev_b32_e32 v4, 3, v6
	v_mov_b32_e32 v5, 0
	v_mul_u32_u24_e32 v6, 6, v0
	s_movk_i32 s8, 0x1800
	v_lshl_add_u64 v[4:5], s[22:23], 0, v[4:5]
	v_add3_u32 v16, v2, v6, s8
	s_or_b64 s[4:5], s[4:5], exec
; %bb.62:
	s_or_b64 exec, exec, s[2:3]
.LBB15_63:
	s_and_saveexec_b64 s[2:3], s[4:5]
	s_cbranch_execz .LBB15_65
; %bb.64:
	global_load_dwordx2 v[4:5], v[4:5], off
	s_waitcnt vmcnt(0)
	ds_write_b64 v16, v[4:5]
.LBB15_65:
	s_or_b64 exec, exec, s[2:3]
	s_and_b64 vcc, exec, s[0:1]
	v_add_u32_e32 v4, s14, v3
	s_waitcnt lgkmcnt(0)
	s_barrier
	s_cbranch_vccnz .LBB15_69
; %bb.66:
	v_lshlrev_b32_e32 v5, 3, v8
	v_lshlrev_b32_e32 v6, 3, v9
	;; [unrolled: 1-line block ×3, first 2 shown]
	ds_read_b64 v[16:17], v5
	ds_read_b64 v[18:19], v6
	;; [unrolled: 1-line block ×3, first 2 shown]
	v_mov_b32_e32 v5, 0
	v_lshl_add_u64 v[20:21], v[4:5], 3, s[10:11]
	s_mov_b64 s[0:1], -1
	s_waitcnt lgkmcnt(1)
	global_store_dwordx4 v[20:21], v[16:19], off
	s_waitcnt lgkmcnt(0)
	global_store_dwordx2 v[20:21], v[6:7], off offset:16
	s_cbranch_execz .LBB15_70
	s_branch .LBB15_79
.LBB15_67:
	s_andn2_saveexec_b64 s[2:3], s[2:3]
	s_cbranch_execz .LBB15_46
.LBB15_68:
	v_lshlrev_b32_e32 v4, 3, v0
	v_mov_b32_e32 v5, 0
	v_lshl_add_u64 v[4:5], s[22:23], 0, v[4:5]
	s_or_b64 s[26:27], s[26:27], exec
	s_or_b64 exec, exec, s[2:3]
	v_mad_u32_u24 v16, v0, 6, v2
	s_and_saveexec_b64 s[2:3], s[26:27]
	s_cbranch_execnz .LBB15_47
	s_branch .LBB15_48
.LBB15_69:
	s_mov_b64 s[0:1], 0
.LBB15_70:
	v_cmp_lt_u32_e32 vcc, v3, v11
	s_and_saveexec_b64 s[2:3], vcc
	s_cbranch_execz .LBB15_72
; %bb.71:
	v_lshlrev_b32_e32 v5, 3, v8
	ds_read_b64 v[6:7], v5
	v_mov_b32_e32 v5, 0
	v_lshl_add_u64 v[16:17], v[4:5], 3, s[10:11]
	s_waitcnt lgkmcnt(0)
	global_store_dwordx2 v[16:17], v[6:7], off
.LBB15_72:
	s_or_b64 exec, exec, s[2:3]
	v_or_b32_e32 v5, 1, v3
	v_cmp_lt_u32_e32 vcc, v5, v11
	s_and_saveexec_b64 s[2:3], vcc
	s_cbranch_execz .LBB15_74
; %bb.73:
	v_lshlrev_b32_e32 v5, 3, v9
	ds_read_b64 v[6:7], v5
	v_mov_b32_e32 v5, 0
	v_lshl_add_u64 v[8:9], v[4:5], 3, s[10:11]
	s_waitcnt lgkmcnt(0)
	global_store_dwordx2 v[8:9], v[6:7], off offset:8
.LBB15_74:
	s_or_b64 exec, exec, s[2:3]
	v_or_b32_e32 v5, 2, v3
	v_cmp_lt_u32_e32 vcc, v5, v11
	s_and_saveexec_b64 s[2:3], vcc
	s_cbranch_execz .LBB15_76
; %bb.75:
	v_lshlrev_b32_e32 v5, 3, v14
	ds_read_b64 v[6:7], v5
	v_mov_b32_e32 v5, 0
	v_lshl_add_u64 v[8:9], v[4:5], 3, s[10:11]
	s_waitcnt lgkmcnt(0)
	global_store_dwordx2 v[8:9], v[6:7], off offset:16
.LBB15_76:
	s_or_b64 exec, exec, s[2:3]
	v_or_b32_e32 v5, 3, v3
	v_cmp_lt_u32_e32 vcc, v5, v11
	s_and_saveexec_b64 s[2:3], vcc
; %bb.77:
	v_mov_b32_e32 v5, 0
	s_or_b64 s[0:1], s[0:1], exec
; %bb.78:
	s_or_b64 exec, exec, s[2:3]
.LBB15_79:
	s_and_saveexec_b64 s[2:3], s[0:1]
	s_cbranch_execz .LBB15_81
; %bb.80:
	v_lshlrev_b32_e32 v6, 3, v15
	ds_read_b64 v[6:7], v6
	v_lshl_add_u64 v[4:5], v[4:5], 3, s[10:11]
	s_waitcnt lgkmcnt(0)
	global_store_dwordx2 v[4:5], v[6:7], off offset:24
.LBB15_81:
	s_or_b64 exec, exec, s[2:3]
	v_lshrrev_b32_e32 v4, 3, v0
	v_and_b32_e32 v4, 30, v4
	s_mov_b32 s2, 0x5040100
	v_add_lshl_u32 v3, v4, v3, 1
	v_perm_b32 v4, v13, v12, s2
	v_perm_b32 v1, v10, v1, s2
	s_barrier
	s_barrier
	ds_write2_b32 v3, v1, v4 offset1:1
	v_lshrrev_b32_e32 v1, 4, v0
	v_and_b32_e32 v1, 12, v1
	v_or_b32_e32 v5, 0x100, v0
	v_add_u32_e32 v7, v2, v1
	v_lshrrev_b32_e32 v1, 4, v5
	v_and_b32_e32 v1, 28, v1
	v_or_b32_e32 v4, 0x200, v0
	v_add_u32_e32 v8, v2, v1
	v_lshrrev_b32_e32 v1, 4, v4
	v_and_b32_e32 v1, 44, v1
	s_mov_b32 s15, 0
	v_add_u32_e32 v9, v2, v1
	v_or_b32_e32 v1, 0x300, v0
	s_lshl_b64 s[0:1], s[14:15], 1
	v_lshrrev_b32_e32 v3, 4, v1
	s_add_u32 s0, s6, s0
	v_and_b32_e32 v3, 60, v3
	s_addc_u32 s1, s7, s1
	v_add_u32_e32 v10, v2, v3
	v_mov_b32_e32 v3, 0
	v_lshl_add_u64 v[2:3], s[0:1], 0, v[2:3]
	s_and_b64 vcc, exec, s[16:17]
	s_waitcnt lgkmcnt(0)
	s_cbranch_vccz .LBB15_83
; %bb.82:
	s_barrier
	ds_read_u16 v11, v7
	ds_read_u16 v12, v8 offset:512
	ds_read_u16 v13, v9 offset:1024
	;; [unrolled: 1-line block ×3, first 2 shown]
	s_waitcnt lgkmcnt(3)
	global_store_short v[2:3], v11, off
	s_waitcnt lgkmcnt(2)
	global_store_short v[2:3], v12, off offset:512
	s_waitcnt lgkmcnt(1)
	global_store_short v[2:3], v13, off offset:1024
	s_mov_b64 s[0:1], -1
	s_cbranch_execz .LBB15_84
	s_branch .LBB15_89
.LBB15_83:
	s_mov_b64 s[0:1], 0
                                        ; implicit-def: $vgpr6
.LBB15_84:
	s_barrier
	s_waitcnt lgkmcnt(0)
	ds_read_u16 v11, v8 offset:512
	ds_read_u16 v8, v9 offset:1024
	ds_read_u16 v6, v10 offset:1536
	s_sub_i32 s2, s12, s14
	v_cmp_gt_u32_e32 vcc, s2, v0
	s_and_saveexec_b64 s[0:1], vcc
	s_cbranch_execz .LBB15_92
; %bb.85:
	ds_read_u16 v0, v7
	s_waitcnt lgkmcnt(0)
	global_store_short v[2:3], v0, off
	s_or_b64 exec, exec, s[0:1]
	v_cmp_gt_u32_e32 vcc, s2, v5
	s_and_saveexec_b64 s[0:1], vcc
	s_cbranch_execnz .LBB15_93
.LBB15_86:
	s_or_b64 exec, exec, s[0:1]
	v_cmp_gt_u32_e32 vcc, s2, v4
	s_and_saveexec_b64 s[0:1], vcc
	s_cbranch_execz .LBB15_88
.LBB15_87:
	s_waitcnt lgkmcnt(1)
	global_store_short v[2:3], v8, off offset:1024
.LBB15_88:
	s_or_b64 exec, exec, s[0:1]
	v_cmp_gt_u32_e64 s[0:1], s2, v1
.LBB15_89:
	s_and_saveexec_b64 s[2:3], s[0:1]
	s_cbranch_execz .LBB15_91
; %bb.90:
	s_waitcnt lgkmcnt(0)
	global_store_short v[2:3], v6, off offset:1536
.LBB15_91:
	s_endpgm
.LBB15_92:
	s_or_b64 exec, exec, s[0:1]
	v_cmp_gt_u32_e32 vcc, s2, v5
	s_and_saveexec_b64 s[0:1], vcc
	s_cbranch_execz .LBB15_86
.LBB15_93:
	s_waitcnt lgkmcnt(2)
	global_store_short v[2:3], v11, off offset:512
	s_or_b64 exec, exec, s[0:1]
	v_cmp_gt_u32_e32 vcc, s2, v4
	s_and_saveexec_b64 s[0:1], vcc
	s_cbranch_execnz .LBB15_87
	s_branch .LBB15_88
	.section	.rodata,"a",@progbits
	.p2align	6, 0x0
	.amdhsa_kernel _ZN7rocprim17ROCPRIM_304000_NS6detail35device_block_merge_mergepath_kernelINS1_37wrapped_merge_sort_block_merge_configINS0_14default_configE12hip_bfloat16N2at4cuda3cub6detail10OpaqueTypeILi8EEEEEPS5_SD_PSB_SE_jNS1_19radix_merge_compareILb0ELb0ES5_NS0_19identity_decomposerEEEEEvT0_T1_T2_T3_T4_SM_jT5_PKSM_NS1_7vsmem_tE
		.amdhsa_group_segment_fixed_size 8208
		.amdhsa_private_segment_fixed_size 0
		.amdhsa_kernarg_size 320
		.amdhsa_user_sgpr_count 2
		.amdhsa_user_sgpr_dispatch_ptr 0
		.amdhsa_user_sgpr_queue_ptr 0
		.amdhsa_user_sgpr_kernarg_segment_ptr 1
		.amdhsa_user_sgpr_dispatch_id 0
		.amdhsa_user_sgpr_kernarg_preload_length 0
		.amdhsa_user_sgpr_kernarg_preload_offset 0
		.amdhsa_user_sgpr_private_segment_size 0
		.amdhsa_uses_dynamic_stack 0
		.amdhsa_enable_private_segment 0
		.amdhsa_system_sgpr_workgroup_id_x 1
		.amdhsa_system_sgpr_workgroup_id_y 1
		.amdhsa_system_sgpr_workgroup_id_z 1
		.amdhsa_system_sgpr_workgroup_info 0
		.amdhsa_system_vgpr_workitem_id 0
		.amdhsa_next_free_vgpr 26
		.amdhsa_next_free_sgpr 30
		.amdhsa_accum_offset 28
		.amdhsa_reserve_vcc 1
		.amdhsa_float_round_mode_32 0
		.amdhsa_float_round_mode_16_64 0
		.amdhsa_float_denorm_mode_32 3
		.amdhsa_float_denorm_mode_16_64 3
		.amdhsa_dx10_clamp 1
		.amdhsa_ieee_mode 1
		.amdhsa_fp16_overflow 0
		.amdhsa_tg_split 0
		.amdhsa_exception_fp_ieee_invalid_op 0
		.amdhsa_exception_fp_denorm_src 0
		.amdhsa_exception_fp_ieee_div_zero 0
		.amdhsa_exception_fp_ieee_overflow 0
		.amdhsa_exception_fp_ieee_underflow 0
		.amdhsa_exception_fp_ieee_inexact 0
		.amdhsa_exception_int_div_zero 0
	.end_amdhsa_kernel
	.section	.text._ZN7rocprim17ROCPRIM_304000_NS6detail35device_block_merge_mergepath_kernelINS1_37wrapped_merge_sort_block_merge_configINS0_14default_configE12hip_bfloat16N2at4cuda3cub6detail10OpaqueTypeILi8EEEEEPS5_SD_PSB_SE_jNS1_19radix_merge_compareILb0ELb0ES5_NS0_19identity_decomposerEEEEEvT0_T1_T2_T3_T4_SM_jT5_PKSM_NS1_7vsmem_tE,"axG",@progbits,_ZN7rocprim17ROCPRIM_304000_NS6detail35device_block_merge_mergepath_kernelINS1_37wrapped_merge_sort_block_merge_configINS0_14default_configE12hip_bfloat16N2at4cuda3cub6detail10OpaqueTypeILi8EEEEEPS5_SD_PSB_SE_jNS1_19radix_merge_compareILb0ELb0ES5_NS0_19identity_decomposerEEEEEvT0_T1_T2_T3_T4_SM_jT5_PKSM_NS1_7vsmem_tE,comdat
.Lfunc_end15:
	.size	_ZN7rocprim17ROCPRIM_304000_NS6detail35device_block_merge_mergepath_kernelINS1_37wrapped_merge_sort_block_merge_configINS0_14default_configE12hip_bfloat16N2at4cuda3cub6detail10OpaqueTypeILi8EEEEEPS5_SD_PSB_SE_jNS1_19radix_merge_compareILb0ELb0ES5_NS0_19identity_decomposerEEEEEvT0_T1_T2_T3_T4_SM_jT5_PKSM_NS1_7vsmem_tE, .Lfunc_end15-_ZN7rocprim17ROCPRIM_304000_NS6detail35device_block_merge_mergepath_kernelINS1_37wrapped_merge_sort_block_merge_configINS0_14default_configE12hip_bfloat16N2at4cuda3cub6detail10OpaqueTypeILi8EEEEEPS5_SD_PSB_SE_jNS1_19radix_merge_compareILb0ELb0ES5_NS0_19identity_decomposerEEEEEvT0_T1_T2_T3_T4_SM_jT5_PKSM_NS1_7vsmem_tE
                                        ; -- End function
	.section	.AMDGPU.csdata,"",@progbits
; Kernel info:
; codeLenInByte = 3596
; NumSgprs: 36
; NumVgprs: 26
; NumAgprs: 0
; TotalNumVgprs: 26
; ScratchSize: 0
; MemoryBound: 1
; FloatMode: 240
; IeeeMode: 1
; LDSByteSize: 8208 bytes/workgroup (compile time only)
; SGPRBlocks: 4
; VGPRBlocks: 3
; NumSGPRsForWavesPerEU: 36
; NumVGPRsForWavesPerEU: 26
; AccumOffset: 28
; Occupancy: 7
; WaveLimiterHint : 1
; COMPUTE_PGM_RSRC2:SCRATCH_EN: 0
; COMPUTE_PGM_RSRC2:USER_SGPR: 2
; COMPUTE_PGM_RSRC2:TRAP_HANDLER: 0
; COMPUTE_PGM_RSRC2:TGID_X_EN: 1
; COMPUTE_PGM_RSRC2:TGID_Y_EN: 1
; COMPUTE_PGM_RSRC2:TGID_Z_EN: 1
; COMPUTE_PGM_RSRC2:TIDIG_COMP_CNT: 0
; COMPUTE_PGM_RSRC3_GFX90A:ACCUM_OFFSET: 6
; COMPUTE_PGM_RSRC3_GFX90A:TG_SPLIT: 0
	.section	.text._ZN7rocprim17ROCPRIM_304000_NS6detail33device_block_merge_oddeven_kernelINS1_37wrapped_merge_sort_block_merge_configINS0_14default_configE12hip_bfloat16N2at4cuda3cub6detail10OpaqueTypeILi8EEEEEPS5_SD_PSB_SE_jNS1_19radix_merge_compareILb0ELb0ES5_NS0_19identity_decomposerEEEEEvT0_T1_T2_T3_T4_SM_T5_,"axG",@progbits,_ZN7rocprim17ROCPRIM_304000_NS6detail33device_block_merge_oddeven_kernelINS1_37wrapped_merge_sort_block_merge_configINS0_14default_configE12hip_bfloat16N2at4cuda3cub6detail10OpaqueTypeILi8EEEEEPS5_SD_PSB_SE_jNS1_19radix_merge_compareILb0ELb0ES5_NS0_19identity_decomposerEEEEEvT0_T1_T2_T3_T4_SM_T5_,comdat
	.protected	_ZN7rocprim17ROCPRIM_304000_NS6detail33device_block_merge_oddeven_kernelINS1_37wrapped_merge_sort_block_merge_configINS0_14default_configE12hip_bfloat16N2at4cuda3cub6detail10OpaqueTypeILi8EEEEEPS5_SD_PSB_SE_jNS1_19radix_merge_compareILb0ELb0ES5_NS0_19identity_decomposerEEEEEvT0_T1_T2_T3_T4_SM_T5_ ; -- Begin function _ZN7rocprim17ROCPRIM_304000_NS6detail33device_block_merge_oddeven_kernelINS1_37wrapped_merge_sort_block_merge_configINS0_14default_configE12hip_bfloat16N2at4cuda3cub6detail10OpaqueTypeILi8EEEEEPS5_SD_PSB_SE_jNS1_19radix_merge_compareILb0ELb0ES5_NS0_19identity_decomposerEEEEEvT0_T1_T2_T3_T4_SM_T5_
	.globl	_ZN7rocprim17ROCPRIM_304000_NS6detail33device_block_merge_oddeven_kernelINS1_37wrapped_merge_sort_block_merge_configINS0_14default_configE12hip_bfloat16N2at4cuda3cub6detail10OpaqueTypeILi8EEEEEPS5_SD_PSB_SE_jNS1_19radix_merge_compareILb0ELb0ES5_NS0_19identity_decomposerEEEEEvT0_T1_T2_T3_T4_SM_T5_
	.p2align	8
	.type	_ZN7rocprim17ROCPRIM_304000_NS6detail33device_block_merge_oddeven_kernelINS1_37wrapped_merge_sort_block_merge_configINS0_14default_configE12hip_bfloat16N2at4cuda3cub6detail10OpaqueTypeILi8EEEEEPS5_SD_PSB_SE_jNS1_19radix_merge_compareILb0ELb0ES5_NS0_19identity_decomposerEEEEEvT0_T1_T2_T3_T4_SM_T5_,@function
_ZN7rocprim17ROCPRIM_304000_NS6detail33device_block_merge_oddeven_kernelINS1_37wrapped_merge_sort_block_merge_configINS0_14default_configE12hip_bfloat16N2at4cuda3cub6detail10OpaqueTypeILi8EEEEEPS5_SD_PSB_SE_jNS1_19radix_merge_compareILb0ELb0ES5_NS0_19identity_decomposerEEEEEvT0_T1_T2_T3_T4_SM_T5_: ; @_ZN7rocprim17ROCPRIM_304000_NS6detail33device_block_merge_oddeven_kernelINS1_37wrapped_merge_sort_block_merge_configINS0_14default_configE12hip_bfloat16N2at4cuda3cub6detail10OpaqueTypeILi8EEEEEPS5_SD_PSB_SE_jNS1_19radix_merge_compareILb0ELb0ES5_NS0_19identity_decomposerEEEEEvT0_T1_T2_T3_T4_SM_T5_
; %bb.0:
	s_load_dwordx2 s[6:7], s[0:1], 0x20
	s_waitcnt lgkmcnt(0)
	s_lshr_b32 s3, s6, 8
	s_cmp_lg_u32 s2, s3
	s_cselect_b64 s[8:9], -1, 0
	s_cmp_eq_u32 s2, s3
	s_cselect_b64 s[16:17], -1, 0
	s_lshl_b32 s18, s2, 8
	s_sub_i32 s3, s6, s18
	v_cmp_gt_u32_e64 s[4:5], s3, v0
	s_or_b64 s[8:9], s[8:9], s[4:5]
	s_and_saveexec_b64 s[10:11], s[8:9]
	s_cbranch_execz .LBB16_26
; %bb.1:
	s_load_dwordx8 s[8:15], s[0:1], 0x0
	s_mov_b32 s19, 0
	s_lshl_b64 s[0:1], s[18:19], 1
	v_lshlrev_b32_e32 v4, 3, v0
	v_lshlrev_b32_e32 v1, 1, v0
	s_waitcnt lgkmcnt(0)
	s_add_u32 s0, s8, s0
	s_addc_u32 s1, s9, s1
	s_lshl_b64 s[20:21], s[18:19], 3
	s_add_u32 s12, s12, s20
	s_addc_u32 s13, s13, s21
	global_load_dwordx2 v[2:3], v4, s[12:13]
	global_load_ushort v6, v1, s[0:1]
	s_lshr_b32 s0, s7, 8
	s_sub_i32 s1, 0, s0
	s_and_b32 s1, s2, s1
	s_and_b32 s0, s1, s0
	s_lshl_b32 s21, s1, 8
	s_sub_i32 s12, 0, s7
	s_cmp_eq_u32 s0, 0
	s_cselect_b64 s[0:1], -1, 0
	s_and_b64 s[2:3], s[0:1], exec
	s_cselect_b32 s20, s7, s12
	s_add_i32 s20, s20, s21
	s_cmp_lt_u32 s20, s6
	v_add_u32_e32 v4, s18, v0
	s_cbranch_scc1 .LBB16_6
; %bb.2:
	s_and_b64 vcc, exec, s[16:17]
	s_cbranch_vccz .LBB16_7
; %bb.3:
	v_cmp_gt_u32_e32 vcc, s6, v4
	s_mov_b64 s[12:13], 0
	s_mov_b64 s[2:3], 0
                                        ; implicit-def: $vgpr0_vgpr1
	s_and_saveexec_b64 s[18:19], vcc
	s_cbranch_execz .LBB16_5
; %bb.4:
	v_mov_b32_e32 v5, 0
	s_mov_b64 s[2:3], exec
	v_lshl_add_u64 v[0:1], v[4:5], 3, s[14:15]
	v_lshl_add_u64 v[8:9], v[4:5], 1, s[10:11]
	s_waitcnt vmcnt(0)
	global_store_short v[8:9], v6, off
.LBB16_5:
	s_or_b64 exec, exec, s[18:19]
	s_and_b64 vcc, exec, s[12:13]
	s_cbranch_vccnz .LBB16_8
	s_branch .LBB16_9
.LBB16_6:
	s_mov_b64 s[2:3], 0
                                        ; implicit-def: $vgpr0_vgpr1
	s_cbranch_execnz .LBB16_10
	s_branch .LBB16_24
.LBB16_7:
	s_mov_b64 s[2:3], 0
                                        ; implicit-def: $vgpr0_vgpr1
	s_cbranch_execz .LBB16_9
.LBB16_8:
	v_mov_b32_e32 v5, 0
	v_lshl_add_u64 v[0:1], v[4:5], 1, s[10:11]
	s_waitcnt vmcnt(0)
	global_store_short v[0:1], v6, off
	v_lshl_add_u64 v[0:1], v[4:5], 3, s[14:15]
	s_or_b64 s[2:3], s[2:3], exec
.LBB16_9:
	s_branch .LBB16_24
.LBB16_10:
	s_min_u32 s12, s20, s6
	s_add_i32 s7, s12, s7
	s_min_u32 s13, s7, s6
	s_min_u32 s6, s21, s12
	s_add_i32 s21, s21, s12
	v_subrev_u32_e32 v0, s21, v4
	v_add_u32_e32 v4, s6, v0
	s_and_b64 vcc, exec, s[16:17]
	s_cbranch_vccz .LBB16_18
; %bb.11:
                                        ; implicit-def: $vgpr0_vgpr1
	s_and_saveexec_b64 s[6:7], s[4:5]
	s_cbranch_execz .LBB16_17
; %bb.12:
	s_cmp_ge_u32 s20, s13
	v_mov_b32_e32 v0, s12
	s_cbranch_scc1 .LBB16_16
; %bb.13:
	s_movk_i32 s16, 0x8000
	s_waitcnt vmcnt(0)
	v_cmp_ne_u16_e32 vcc, s16, v6
	v_mov_b32_e32 v1, 0xffff8000
	s_mov_b64 s[4:5], 0
	v_cndmask_b32_e32 v0, 0, v6, vcc
	v_cmp_lt_i16_e32 vcc, -1, v0
	v_mov_b32_e32 v7, s13
	s_nop 0
	v_cndmask_b32_e32 v5, -1, v1, vcc
	v_xor_b32_e32 v5, v5, v0
	v_mov_b32_e32 v0, s12
.LBB16_14:                              ; =>This Inner Loop Header: Depth=1
	v_add_u32_e32 v8, v0, v7
	v_and_b32_e32 v9, -2, v8
	global_load_ushort v9, v9, s[8:9]
	v_lshrrev_b32_e32 v8, 1, v8
	v_add_u32_e32 v10, 1, v8
	s_waitcnt vmcnt(0)
	v_cmp_ne_u16_e32 vcc, s16, v9
	s_nop 1
	v_cndmask_b32_e32 v9, 0, v9, vcc
	v_cmp_lt_i16_e32 vcc, -1, v9
	s_nop 1
	v_cndmask_b32_e32 v11, -1, v1, vcc
	v_xor_b32_e32 v9, v11, v9
	v_cmp_gt_u16_e32 vcc, v5, v9
	s_nop 1
	v_cndmask_b32_e64 v11, 0, 1, vcc
	v_cmp_le_u16_e32 vcc, v9, v5
	s_nop 1
	v_cndmask_b32_e64 v9, 0, 1, vcc
	v_cndmask_b32_e64 v9, v9, v11, s[0:1]
	v_and_b32_e32 v9, 1, v9
	v_cmp_eq_u32_e32 vcc, 1, v9
	s_nop 1
	v_cndmask_b32_e32 v7, v8, v7, vcc
	v_cndmask_b32_e32 v0, v0, v10, vcc
	v_cmp_ge_u32_e32 vcc, v0, v7
	s_or_b64 s[4:5], vcc, s[4:5]
	s_andn2_b64 exec, exec, s[4:5]
	s_cbranch_execnz .LBB16_14
; %bb.15:
	s_or_b64 exec, exec, s[4:5]
.LBB16_16:
	v_add_u32_e32 v0, v0, v4
	v_mov_b32_e32 v1, 0
	v_lshl_add_u64 v[8:9], v[0:1], 1, s[10:11]
	s_waitcnt vmcnt(0)
	global_store_short v[8:9], v6, off
	v_lshl_add_u64 v[0:1], v[0:1], 3, s[14:15]
	s_or_b64 s[2:3], s[2:3], exec
.LBB16_17:
	s_or_b64 exec, exec, s[6:7]
	s_branch .LBB16_24
.LBB16_18:
                                        ; implicit-def: $vgpr0_vgpr1
	s_cbranch_execz .LBB16_24
; %bb.19:
	s_cmp_ge_u32 s20, s13
	v_mov_b32_e32 v0, s12
	s_cbranch_scc1 .LBB16_23
; %bb.20:
	s_movk_i32 s4, 0x8000
	s_waitcnt vmcnt(0)
	v_cmp_ne_u16_e32 vcc, s4, v6
	v_mov_b32_e32 v1, 0xffff8000
	s_mov_b64 s[2:3], 0
	v_cndmask_b32_e32 v0, 0, v6, vcc
	v_cmp_lt_i16_e32 vcc, -1, v0
	v_mov_b32_e32 v7, s13
	s_nop 0
	v_cndmask_b32_e32 v5, -1, v1, vcc
	v_xor_b32_e32 v5, v5, v0
	v_mov_b32_e32 v0, s12
.LBB16_21:                              ; =>This Inner Loop Header: Depth=1
	v_add_u32_e32 v8, v0, v7
	v_and_b32_e32 v9, -2, v8
	global_load_ushort v9, v9, s[8:9]
	v_lshrrev_b32_e32 v8, 1, v8
	v_add_u32_e32 v10, 1, v8
	s_waitcnt vmcnt(0)
	v_cmp_ne_u16_e32 vcc, s4, v9
	s_nop 1
	v_cndmask_b32_e32 v9, 0, v9, vcc
	v_cmp_lt_i16_e32 vcc, -1, v9
	s_nop 1
	v_cndmask_b32_e32 v11, -1, v1, vcc
	v_xor_b32_e32 v9, v11, v9
	v_cmp_gt_u16_e32 vcc, v5, v9
	s_nop 1
	v_cndmask_b32_e64 v11, 0, 1, vcc
	v_cmp_le_u16_e32 vcc, v9, v5
	s_nop 1
	v_cndmask_b32_e64 v9, 0, 1, vcc
	v_cndmask_b32_e64 v9, v9, v11, s[0:1]
	v_and_b32_e32 v9, 1, v9
	v_cmp_eq_u32_e32 vcc, 1, v9
	s_nop 1
	v_cndmask_b32_e32 v7, v8, v7, vcc
	v_cndmask_b32_e32 v0, v0, v10, vcc
	v_cmp_ge_u32_e32 vcc, v0, v7
	s_or_b64 s[2:3], vcc, s[2:3]
	s_andn2_b64 exec, exec, s[2:3]
	s_cbranch_execnz .LBB16_21
; %bb.22:
	s_or_b64 exec, exec, s[2:3]
.LBB16_23:
	v_add_u32_e32 v0, v0, v4
	v_mov_b32_e32 v1, 0
	v_lshl_add_u64 v[4:5], v[0:1], 1, s[10:11]
	v_lshl_add_u64 v[0:1], v[0:1], 3, s[14:15]
	s_mov_b64 s[2:3], -1
	s_waitcnt vmcnt(0)
	global_store_short v[4:5], v6, off
.LBB16_24:
	s_and_b64 exec, exec, s[2:3]
	s_cbranch_execz .LBB16_26
; %bb.25:
	s_waitcnt vmcnt(1)
	global_store_dwordx2 v[0:1], v[2:3], off
.LBB16_26:
	s_endpgm
	.section	.rodata,"a",@progbits
	.p2align	6, 0x0
	.amdhsa_kernel _ZN7rocprim17ROCPRIM_304000_NS6detail33device_block_merge_oddeven_kernelINS1_37wrapped_merge_sort_block_merge_configINS0_14default_configE12hip_bfloat16N2at4cuda3cub6detail10OpaqueTypeILi8EEEEEPS5_SD_PSB_SE_jNS1_19radix_merge_compareILb0ELb0ES5_NS0_19identity_decomposerEEEEEvT0_T1_T2_T3_T4_SM_T5_
		.amdhsa_group_segment_fixed_size 0
		.amdhsa_private_segment_fixed_size 0
		.amdhsa_kernarg_size 44
		.amdhsa_user_sgpr_count 2
		.amdhsa_user_sgpr_dispatch_ptr 0
		.amdhsa_user_sgpr_queue_ptr 0
		.amdhsa_user_sgpr_kernarg_segment_ptr 1
		.amdhsa_user_sgpr_dispatch_id 0
		.amdhsa_user_sgpr_kernarg_preload_length 0
		.amdhsa_user_sgpr_kernarg_preload_offset 0
		.amdhsa_user_sgpr_private_segment_size 0
		.amdhsa_uses_dynamic_stack 0
		.amdhsa_enable_private_segment 0
		.amdhsa_system_sgpr_workgroup_id_x 1
		.amdhsa_system_sgpr_workgroup_id_y 0
		.amdhsa_system_sgpr_workgroup_id_z 0
		.amdhsa_system_sgpr_workgroup_info 0
		.amdhsa_system_vgpr_workitem_id 0
		.amdhsa_next_free_vgpr 12
		.amdhsa_next_free_sgpr 22
		.amdhsa_accum_offset 12
		.amdhsa_reserve_vcc 1
		.amdhsa_float_round_mode_32 0
		.amdhsa_float_round_mode_16_64 0
		.amdhsa_float_denorm_mode_32 3
		.amdhsa_float_denorm_mode_16_64 3
		.amdhsa_dx10_clamp 1
		.amdhsa_ieee_mode 1
		.amdhsa_fp16_overflow 0
		.amdhsa_tg_split 0
		.amdhsa_exception_fp_ieee_invalid_op 0
		.amdhsa_exception_fp_denorm_src 0
		.amdhsa_exception_fp_ieee_div_zero 0
		.amdhsa_exception_fp_ieee_overflow 0
		.amdhsa_exception_fp_ieee_underflow 0
		.amdhsa_exception_fp_ieee_inexact 0
		.amdhsa_exception_int_div_zero 0
	.end_amdhsa_kernel
	.section	.text._ZN7rocprim17ROCPRIM_304000_NS6detail33device_block_merge_oddeven_kernelINS1_37wrapped_merge_sort_block_merge_configINS0_14default_configE12hip_bfloat16N2at4cuda3cub6detail10OpaqueTypeILi8EEEEEPS5_SD_PSB_SE_jNS1_19radix_merge_compareILb0ELb0ES5_NS0_19identity_decomposerEEEEEvT0_T1_T2_T3_T4_SM_T5_,"axG",@progbits,_ZN7rocprim17ROCPRIM_304000_NS6detail33device_block_merge_oddeven_kernelINS1_37wrapped_merge_sort_block_merge_configINS0_14default_configE12hip_bfloat16N2at4cuda3cub6detail10OpaqueTypeILi8EEEEEPS5_SD_PSB_SE_jNS1_19radix_merge_compareILb0ELb0ES5_NS0_19identity_decomposerEEEEEvT0_T1_T2_T3_T4_SM_T5_,comdat
.Lfunc_end16:
	.size	_ZN7rocprim17ROCPRIM_304000_NS6detail33device_block_merge_oddeven_kernelINS1_37wrapped_merge_sort_block_merge_configINS0_14default_configE12hip_bfloat16N2at4cuda3cub6detail10OpaqueTypeILi8EEEEEPS5_SD_PSB_SE_jNS1_19radix_merge_compareILb0ELb0ES5_NS0_19identity_decomposerEEEEEvT0_T1_T2_T3_T4_SM_T5_, .Lfunc_end16-_ZN7rocprim17ROCPRIM_304000_NS6detail33device_block_merge_oddeven_kernelINS1_37wrapped_merge_sort_block_merge_configINS0_14default_configE12hip_bfloat16N2at4cuda3cub6detail10OpaqueTypeILi8EEEEEPS5_SD_PSB_SE_jNS1_19radix_merge_compareILb0ELb0ES5_NS0_19identity_decomposerEEEEEvT0_T1_T2_T3_T4_SM_T5_
                                        ; -- End function
	.section	.AMDGPU.csdata,"",@progbits
; Kernel info:
; codeLenInByte = 880
; NumSgprs: 28
; NumVgprs: 12
; NumAgprs: 0
; TotalNumVgprs: 12
; ScratchSize: 0
; MemoryBound: 0
; FloatMode: 240
; IeeeMode: 1
; LDSByteSize: 0 bytes/workgroup (compile time only)
; SGPRBlocks: 3
; VGPRBlocks: 1
; NumSGPRsForWavesPerEU: 28
; NumVGPRsForWavesPerEU: 12
; AccumOffset: 12
; Occupancy: 8
; WaveLimiterHint : 0
; COMPUTE_PGM_RSRC2:SCRATCH_EN: 0
; COMPUTE_PGM_RSRC2:USER_SGPR: 2
; COMPUTE_PGM_RSRC2:TRAP_HANDLER: 0
; COMPUTE_PGM_RSRC2:TGID_X_EN: 1
; COMPUTE_PGM_RSRC2:TGID_Y_EN: 0
; COMPUTE_PGM_RSRC2:TGID_Z_EN: 0
; COMPUTE_PGM_RSRC2:TIDIG_COMP_CNT: 0
; COMPUTE_PGM_RSRC3_GFX90A:ACCUM_OFFSET: 2
; COMPUTE_PGM_RSRC3_GFX90A:TG_SPLIT: 0
	.section	.text._ZN7rocprim17ROCPRIM_304000_NS6detail26onesweep_histograms_kernelINS1_34wrapped_radix_sort_onesweep_configINS0_14default_configE12hip_bfloat16N2at4cuda3cub6detail10OpaqueTypeILi8EEEEELb0EPKS5_mNS0_19identity_decomposerEEEvT1_PT2_SH_SH_T3_jj,"axG",@progbits,_ZN7rocprim17ROCPRIM_304000_NS6detail26onesweep_histograms_kernelINS1_34wrapped_radix_sort_onesweep_configINS0_14default_configE12hip_bfloat16N2at4cuda3cub6detail10OpaqueTypeILi8EEEEELb0EPKS5_mNS0_19identity_decomposerEEEvT1_PT2_SH_SH_T3_jj,comdat
	.protected	_ZN7rocprim17ROCPRIM_304000_NS6detail26onesweep_histograms_kernelINS1_34wrapped_radix_sort_onesweep_configINS0_14default_configE12hip_bfloat16N2at4cuda3cub6detail10OpaqueTypeILi8EEEEELb0EPKS5_mNS0_19identity_decomposerEEEvT1_PT2_SH_SH_T3_jj ; -- Begin function _ZN7rocprim17ROCPRIM_304000_NS6detail26onesweep_histograms_kernelINS1_34wrapped_radix_sort_onesweep_configINS0_14default_configE12hip_bfloat16N2at4cuda3cub6detail10OpaqueTypeILi8EEEEELb0EPKS5_mNS0_19identity_decomposerEEEvT1_PT2_SH_SH_T3_jj
	.globl	_ZN7rocprim17ROCPRIM_304000_NS6detail26onesweep_histograms_kernelINS1_34wrapped_radix_sort_onesweep_configINS0_14default_configE12hip_bfloat16N2at4cuda3cub6detail10OpaqueTypeILi8EEEEELb0EPKS5_mNS0_19identity_decomposerEEEvT1_PT2_SH_SH_T3_jj
	.p2align	8
	.type	_ZN7rocprim17ROCPRIM_304000_NS6detail26onesweep_histograms_kernelINS1_34wrapped_radix_sort_onesweep_configINS0_14default_configE12hip_bfloat16N2at4cuda3cub6detail10OpaqueTypeILi8EEEEELb0EPKS5_mNS0_19identity_decomposerEEEvT1_PT2_SH_SH_T3_jj,@function
_ZN7rocprim17ROCPRIM_304000_NS6detail26onesweep_histograms_kernelINS1_34wrapped_radix_sort_onesweep_configINS0_14default_configE12hip_bfloat16N2at4cuda3cub6detail10OpaqueTypeILi8EEEEELb0EPKS5_mNS0_19identity_decomposerEEEvT1_PT2_SH_SH_T3_jj: ; @_ZN7rocprim17ROCPRIM_304000_NS6detail26onesweep_histograms_kernelINS1_34wrapped_radix_sort_onesweep_configINS0_14default_configE12hip_bfloat16N2at4cuda3cub6detail10OpaqueTypeILi8EEEEELb0EPKS5_mNS0_19identity_decomposerEEEvT1_PT2_SH_SH_T3_jj
; %bb.0:
	s_load_dwordx8 s[64:71], s[0:1], 0x0
	s_load_dwordx2 s[72:73], s[0:1], 0x24
	s_mov_b32 s3, 0
	s_lshl_b64 s[0:1], s[2:3], 16
	s_waitcnt lgkmcnt(0)
	v_mov_b64_e32 v[2:3], s[70:71]
	v_cmp_ge_u64_e32 vcc, s[2:3], v[2:3]
	s_add_u32 s74, s64, s0
	s_addc_u32 s75, s65, s1
	s_mov_b64 s[0:1], -1
	v_lshlrev_b32_e32 v2, 1, v0
	s_cbranch_vccz .LBB17_200
; %bb.1:
	s_lshl_b32 s0, s70, 15
	s_sub_i32 s33, s68, s0
	v_mov_b32_e32 v3, 0
	v_lshl_add_u64 v[4:5], s[74:75], 0, v[2:3]
	v_cmp_gt_u32_e64 s[64:65], s33, v0
                                        ; implicit-def: $vgpr1
	s_and_saveexec_b64 s[0:1], s[64:65]
	s_cbranch_execz .LBB17_3
; %bb.2:
	global_load_ushort v1, v[4:5], off
.LBB17_3:
	s_or_b64 exec, exec, s[0:1]
	v_or_b32_e32 v3, 0x400, v0
	v_cmp_gt_u32_e64 s[62:63], s33, v3
                                        ; implicit-def: $vgpr35
	s_and_saveexec_b64 s[0:1], s[62:63]
	s_cbranch_execz .LBB17_5
; %bb.4:
	global_load_ushort v35, v[4:5], off offset:2048
.LBB17_5:
	s_or_b64 exec, exec, s[0:1]
	v_or_b32_e32 v3, 0x800, v0
	v_cmp_gt_u32_e64 s[60:61], s33, v3
                                        ; implicit-def: $vgpr34
	s_and_saveexec_b64 s[0:1], s[60:61]
	s_cbranch_execz .LBB17_7
; %bb.6:
	v_add_co_u32_e32 v6, vcc, 0x1000, v4
	s_nop 1
	v_addc_co_u32_e32 v7, vcc, 0, v5, vcc
	global_load_ushort v34, v[6:7], off
.LBB17_7:
	s_or_b64 exec, exec, s[0:1]
	v_or_b32_e32 v3, 0xc00, v0
	v_cmp_gt_u32_e64 s[58:59], s33, v3
                                        ; implicit-def: $vgpr33
	s_and_saveexec_b64 s[0:1], s[58:59]
	s_cbranch_execz .LBB17_9
; %bb.8:
	v_add_co_u32_e32 v6, vcc, 0x1000, v4
	s_nop 1
	v_addc_co_u32_e32 v7, vcc, 0, v5, vcc
	global_load_ushort v33, v[6:7], off offset:2048
.LBB17_9:
	s_or_b64 exec, exec, s[0:1]
	v_or_b32_e32 v3, 0x1000, v0
	v_cmp_gt_u32_e64 s[56:57], s33, v3
                                        ; implicit-def: $vgpr32
	s_and_saveexec_b64 s[0:1], s[56:57]
	s_cbranch_execz .LBB17_11
; %bb.10:
	v_add_co_u32_e32 v6, vcc, 0x2000, v4
	s_nop 1
	v_addc_co_u32_e32 v7, vcc, 0, v5, vcc
	global_load_ushort v32, v[6:7], off
.LBB17_11:
	s_or_b64 exec, exec, s[0:1]
	v_or_b32_e32 v3, 0x1400, v0
	v_cmp_gt_u32_e64 s[54:55], s33, v3
                                        ; implicit-def: $vgpr31
	s_and_saveexec_b64 s[0:1], s[54:55]
	s_cbranch_execz .LBB17_13
; %bb.12:
	v_add_co_u32_e32 v6, vcc, 0x2000, v4
	s_nop 1
	v_addc_co_u32_e32 v7, vcc, 0, v5, vcc
	global_load_ushort v31, v[6:7], off offset:2048
.LBB17_13:
	s_or_b64 exec, exec, s[0:1]
	v_or_b32_e32 v3, 0x1800, v0
	v_cmp_gt_u32_e64 s[52:53], s33, v3
                                        ; implicit-def: $vgpr30
	s_and_saveexec_b64 s[0:1], s[52:53]
	s_cbranch_execz .LBB17_15
; %bb.14:
	v_add_co_u32_e32 v6, vcc, 0x3000, v4
	s_nop 1
	v_addc_co_u32_e32 v7, vcc, 0, v5, vcc
	global_load_ushort v30, v[6:7], off
.LBB17_15:
	s_or_b64 exec, exec, s[0:1]
	v_or_b32_e32 v3, 0x1c00, v0
	v_cmp_gt_u32_e64 s[50:51], s33, v3
                                        ; implicit-def: $vgpr29
	s_and_saveexec_b64 s[0:1], s[50:51]
	s_cbranch_execz .LBB17_17
; %bb.16:
	v_add_co_u32_e32 v6, vcc, 0x3000, v4
	s_nop 1
	v_addc_co_u32_e32 v7, vcc, 0, v5, vcc
	global_load_ushort v29, v[6:7], off offset:2048
.LBB17_17:
	s_or_b64 exec, exec, s[0:1]
	v_or_b32_e32 v3, 0x2000, v0
	v_cmp_gt_u32_e64 s[48:49], s33, v3
                                        ; implicit-def: $vgpr28
	s_and_saveexec_b64 s[0:1], s[48:49]
	s_cbranch_execz .LBB17_19
; %bb.18:
	v_add_co_u32_e32 v6, vcc, 0x4000, v4
	s_nop 1
	v_addc_co_u32_e32 v7, vcc, 0, v5, vcc
	global_load_ushort v28, v[6:7], off
.LBB17_19:
	s_or_b64 exec, exec, s[0:1]
	v_or_b32_e32 v3, 0x2400, v0
	v_cmp_gt_u32_e64 s[46:47], s33, v3
                                        ; implicit-def: $vgpr27
	s_and_saveexec_b64 s[0:1], s[46:47]
	s_cbranch_execz .LBB17_21
; %bb.20:
	v_add_co_u32_e32 v6, vcc, 0x4000, v4
	s_nop 1
	v_addc_co_u32_e32 v7, vcc, 0, v5, vcc
	global_load_ushort v27, v[6:7], off offset:2048
.LBB17_21:
	s_or_b64 exec, exec, s[0:1]
	v_or_b32_e32 v3, 0x2800, v0
	v_cmp_gt_u32_e64 s[44:45], s33, v3
                                        ; implicit-def: $vgpr26
	s_and_saveexec_b64 s[0:1], s[44:45]
	s_cbranch_execz .LBB17_23
; %bb.22:
	v_add_co_u32_e32 v6, vcc, 0x5000, v4
	s_nop 1
	v_addc_co_u32_e32 v7, vcc, 0, v5, vcc
	global_load_ushort v26, v[6:7], off
.LBB17_23:
	s_or_b64 exec, exec, s[0:1]
	v_or_b32_e32 v3, 0x2c00, v0
	v_cmp_gt_u32_e64 s[42:43], s33, v3
                                        ; implicit-def: $vgpr25
	s_and_saveexec_b64 s[0:1], s[42:43]
	s_cbranch_execz .LBB17_25
; %bb.24:
	v_add_co_u32_e32 v6, vcc, 0x5000, v4
	s_nop 1
	v_addc_co_u32_e32 v7, vcc, 0, v5, vcc
	global_load_ushort v25, v[6:7], off offset:2048
.LBB17_25:
	s_or_b64 exec, exec, s[0:1]
	v_or_b32_e32 v3, 0x3000, v0
	v_cmp_gt_u32_e64 s[40:41], s33, v3
                                        ; implicit-def: $vgpr24
	s_and_saveexec_b64 s[0:1], s[40:41]
	s_cbranch_execz .LBB17_27
; %bb.26:
	v_add_co_u32_e32 v6, vcc, 0x6000, v4
	s_nop 1
	v_addc_co_u32_e32 v7, vcc, 0, v5, vcc
	global_load_ushort v24, v[6:7], off
.LBB17_27:
	s_or_b64 exec, exec, s[0:1]
	v_or_b32_e32 v3, 0x3400, v0
	v_cmp_gt_u32_e64 s[38:39], s33, v3
                                        ; implicit-def: $vgpr23
	s_and_saveexec_b64 s[0:1], s[38:39]
	s_cbranch_execz .LBB17_29
; %bb.28:
	v_add_co_u32_e32 v6, vcc, 0x6000, v4
	s_nop 1
	v_addc_co_u32_e32 v7, vcc, 0, v5, vcc
	global_load_ushort v23, v[6:7], off offset:2048
.LBB17_29:
	s_or_b64 exec, exec, s[0:1]
	v_or_b32_e32 v3, 0x3800, v0
	v_cmp_gt_u32_e64 s[36:37], s33, v3
                                        ; implicit-def: $vgpr22
	s_and_saveexec_b64 s[0:1], s[36:37]
	s_cbranch_execz .LBB17_31
; %bb.30:
	v_add_co_u32_e32 v6, vcc, 0x7000, v4
	s_nop 1
	v_addc_co_u32_e32 v7, vcc, 0, v5, vcc
	global_load_ushort v22, v[6:7], off
.LBB17_31:
	s_or_b64 exec, exec, s[0:1]
	v_or_b32_e32 v3, 0x3c00, v0
	v_cmp_gt_u32_e64 s[34:35], s33, v3
                                        ; implicit-def: $vgpr21
	s_and_saveexec_b64 s[0:1], s[34:35]
	s_cbranch_execz .LBB17_33
; %bb.32:
	v_add_co_u32_e32 v6, vcc, 0x7000, v4
	s_nop 1
	v_addc_co_u32_e32 v7, vcc, 0, v5, vcc
	global_load_ushort v21, v[6:7], off offset:2048
.LBB17_33:
	s_or_b64 exec, exec, s[0:1]
	v_or_b32_e32 v3, 0x4000, v0
	v_cmp_gt_u32_e64 s[30:31], s33, v3
                                        ; implicit-def: $vgpr20
	s_and_saveexec_b64 s[0:1], s[30:31]
	s_cbranch_execz .LBB17_35
; %bb.34:
	v_add_co_u32_e32 v6, vcc, 0x8000, v4
	s_nop 1
	v_addc_co_u32_e32 v7, vcc, 0, v5, vcc
	global_load_ushort v20, v[6:7], off
.LBB17_35:
	s_or_b64 exec, exec, s[0:1]
	v_or_b32_e32 v3, 0x4400, v0
	v_cmp_gt_u32_e64 s[28:29], s33, v3
                                        ; implicit-def: $vgpr19
	s_and_saveexec_b64 s[0:1], s[28:29]
	s_cbranch_execz .LBB17_37
; %bb.36:
	v_add_co_u32_e32 v6, vcc, 0x8000, v4
	s_nop 1
	v_addc_co_u32_e32 v7, vcc, 0, v5, vcc
	global_load_ushort v19, v[6:7], off offset:2048
.LBB17_37:
	s_or_b64 exec, exec, s[0:1]
	v_or_b32_e32 v3, 0x4800, v0
	v_cmp_gt_u32_e64 s[26:27], s33, v3
                                        ; implicit-def: $vgpr18
	s_and_saveexec_b64 s[0:1], s[26:27]
	s_cbranch_execz .LBB17_39
; %bb.38:
	v_add_co_u32_e32 v6, vcc, 0x9000, v4
	s_nop 1
	v_addc_co_u32_e32 v7, vcc, 0, v5, vcc
	global_load_ushort v18, v[6:7], off
.LBB17_39:
	s_or_b64 exec, exec, s[0:1]
	v_or_b32_e32 v3, 0x4c00, v0
	v_cmp_gt_u32_e64 s[24:25], s33, v3
                                        ; implicit-def: $vgpr17
	s_and_saveexec_b64 s[0:1], s[24:25]
	s_cbranch_execz .LBB17_41
; %bb.40:
	v_add_co_u32_e32 v6, vcc, 0x9000, v4
	s_nop 1
	v_addc_co_u32_e32 v7, vcc, 0, v5, vcc
	global_load_ushort v17, v[6:7], off offset:2048
.LBB17_41:
	s_or_b64 exec, exec, s[0:1]
	v_or_b32_e32 v3, 0x5000, v0
	v_cmp_gt_u32_e64 s[22:23], s33, v3
                                        ; implicit-def: $vgpr16
	s_and_saveexec_b64 s[0:1], s[22:23]
	s_cbranch_execz .LBB17_43
; %bb.42:
	v_add_co_u32_e32 v6, vcc, 0xa000, v4
	s_nop 1
	v_addc_co_u32_e32 v7, vcc, 0, v5, vcc
	global_load_ushort v16, v[6:7], off
.LBB17_43:
	s_or_b64 exec, exec, s[0:1]
	v_or_b32_e32 v3, 0x5400, v0
	v_cmp_gt_u32_e64 s[20:21], s33, v3
                                        ; implicit-def: $vgpr15
	s_and_saveexec_b64 s[0:1], s[20:21]
	s_cbranch_execz .LBB17_45
; %bb.44:
	v_add_co_u32_e32 v6, vcc, 0xa000, v4
	s_nop 1
	v_addc_co_u32_e32 v7, vcc, 0, v5, vcc
	global_load_ushort v15, v[6:7], off offset:2048
.LBB17_45:
	s_or_b64 exec, exec, s[0:1]
	v_or_b32_e32 v3, 0x5800, v0
	v_cmp_gt_u32_e64 s[18:19], s33, v3
                                        ; implicit-def: $vgpr14
	s_and_saveexec_b64 s[0:1], s[18:19]
	s_cbranch_execz .LBB17_47
; %bb.46:
	v_add_co_u32_e32 v6, vcc, 0xb000, v4
	s_nop 1
	v_addc_co_u32_e32 v7, vcc, 0, v5, vcc
	global_load_ushort v14, v[6:7], off
.LBB17_47:
	s_or_b64 exec, exec, s[0:1]
	v_or_b32_e32 v3, 0x5c00, v0
	v_cmp_gt_u32_e64 s[16:17], s33, v3
                                        ; implicit-def: $vgpr13
	s_and_saveexec_b64 s[0:1], s[16:17]
	s_cbranch_execz .LBB17_49
; %bb.48:
	v_add_co_u32_e32 v6, vcc, 0xb000, v4
	s_nop 1
	v_addc_co_u32_e32 v7, vcc, 0, v5, vcc
	global_load_ushort v13, v[6:7], off offset:2048
.LBB17_49:
	s_or_b64 exec, exec, s[0:1]
	v_or_b32_e32 v3, 0x6000, v0
	v_cmp_gt_u32_e64 s[14:15], s33, v3
                                        ; implicit-def: $vgpr12
	s_and_saveexec_b64 s[0:1], s[14:15]
	s_cbranch_execz .LBB17_51
; %bb.50:
	v_add_co_u32_e32 v6, vcc, 0xc000, v4
	s_nop 1
	v_addc_co_u32_e32 v7, vcc, 0, v5, vcc
	global_load_ushort v12, v[6:7], off
.LBB17_51:
	s_or_b64 exec, exec, s[0:1]
	v_or_b32_e32 v3, 0x6400, v0
	v_cmp_gt_u32_e64 s[12:13], s33, v3
                                        ; implicit-def: $vgpr11
	s_and_saveexec_b64 s[0:1], s[12:13]
	s_cbranch_execz .LBB17_53
; %bb.52:
	v_add_co_u32_e32 v6, vcc, 0xc000, v4
	s_nop 1
	v_addc_co_u32_e32 v7, vcc, 0, v5, vcc
	global_load_ushort v11, v[6:7], off offset:2048
.LBB17_53:
	s_or_b64 exec, exec, s[0:1]
	v_or_b32_e32 v3, 0x6800, v0
	v_cmp_gt_u32_e64 s[10:11], s33, v3
                                        ; implicit-def: $vgpr10
	s_and_saveexec_b64 s[0:1], s[10:11]
	s_cbranch_execz .LBB17_55
; %bb.54:
	v_add_co_u32_e32 v6, vcc, 0xd000, v4
	s_nop 1
	v_addc_co_u32_e32 v7, vcc, 0, v5, vcc
	global_load_ushort v10, v[6:7], off
.LBB17_55:
	s_or_b64 exec, exec, s[0:1]
	v_or_b32_e32 v3, 0x6c00, v0
	v_cmp_gt_u32_e64 s[8:9], s33, v3
                                        ; implicit-def: $vgpr9
	s_and_saveexec_b64 s[0:1], s[8:9]
	s_cbranch_execz .LBB17_57
; %bb.56:
	v_add_co_u32_e32 v6, vcc, 0xd000, v4
	s_nop 1
	v_addc_co_u32_e32 v7, vcc, 0, v5, vcc
	global_load_ushort v9, v[6:7], off offset:2048
.LBB17_57:
	s_or_b64 exec, exec, s[0:1]
	v_or_b32_e32 v3, 0x7000, v0
	v_cmp_gt_u32_e64 s[6:7], s33, v3
                                        ; implicit-def: $vgpr8
	s_and_saveexec_b64 s[0:1], s[6:7]
	s_cbranch_execz .LBB17_59
; %bb.58:
	v_add_co_u32_e32 v6, vcc, 0xe000, v4
	s_nop 1
	v_addc_co_u32_e32 v7, vcc, 0, v5, vcc
	global_load_ushort v8, v[6:7], off
.LBB17_59:
	s_or_b64 exec, exec, s[0:1]
	v_or_b32_e32 v3, 0x7400, v0
	v_cmp_gt_u32_e64 s[4:5], s33, v3
                                        ; implicit-def: $vgpr7
	s_and_saveexec_b64 s[0:1], s[4:5]
	s_cbranch_execz .LBB17_61
; %bb.60:
	v_add_co_u32_e32 v6, vcc, 0xe000, v4
	s_nop 1
	v_addc_co_u32_e32 v7, vcc, 0, v5, vcc
	global_load_ushort v7, v[6:7], off offset:2048
.LBB17_61:
	s_or_b64 exec, exec, s[0:1]
	v_or_b32_e32 v3, 0x7800, v0
	v_cmp_gt_u32_e64 s[2:3], s33, v3
                                        ; implicit-def: $vgpr6
	s_and_saveexec_b64 s[0:1], s[2:3]
	s_cbranch_execz .LBB17_63
; %bb.62:
	v_add_co_u32_e32 v36, vcc, 0xf000, v4
	s_nop 1
	v_addc_co_u32_e32 v37, vcc, 0, v5, vcc
	global_load_ushort v6, v[36:37], off
.LBB17_63:
	s_or_b64 exec, exec, s[0:1]
	v_or_b32_e32 v3, 0x7c00, v0
	v_cmp_gt_u32_e64 s[0:1], s33, v3
                                        ; implicit-def: $vgpr3
	s_and_saveexec_b64 s[68:69], s[0:1]
	s_cbranch_execz .LBB17_65
; %bb.64:
	v_add_co_u32_e32 v4, vcc, 0xf000, v4
	s_nop 1
	v_addc_co_u32_e32 v5, vcc, 0, v5, vcc
	global_load_ushort v3, v[4:5], off offset:2048
.LBB17_65:
	s_or_b64 exec, exec, s[68:69]
	s_cmp_gt_u32 s73, s72
	v_lshlrev_b32_e32 v4, 2, v0
	v_mov_b32_e32 v5, 0
	s_cselect_b64 s[68:69], -1, 0
	s_cmp_le_u32 s73, s72
	ds_write2st64_b32 v4, v5, v5 offset1:16
	s_waitcnt lgkmcnt(0)
	s_barrier
	s_cbranch_scc1 .LBB17_194
; %bb.66:
	v_mov_b32_e32 v4, 0xffff8000
	s_waitcnt vmcnt(0)
	v_cmp_lt_i16_e32 vcc, -1, v1
	s_movk_i32 s33, 0x7fff
	v_and_b32_e32 v5, 3, v0
	v_cndmask_b32_e32 v36, -1, v4, vcc
	v_xor_b32_e32 v1, v36, v1
	v_cmp_ne_u16_e32 vcc, s33, v1
	s_sub_i32 s33, s73, s72
	s_mov_b32 s76, s33
	v_cndmask_b32_e32 v4, v4, v1, vcc
	v_lshlrev_b32_e32 v1, 2, v5
	v_mov_b32_e32 v5, 1
	v_mov_b32_e32 v36, v1
	s_mov_b32 s77, s72
	s_branch .LBB17_68
.LBB17_67:                              ;   in Loop: Header=BB17_68 Depth=1
	s_or_b64 exec, exec, s[70:71]
	s_add_i32 s77, s77, 8
	s_add_i32 s76, s76, -8
	s_cmp_ge_u32 s77, s73
	v_add_u32_e32 v36, 0x1000, v36
	s_cbranch_scc1 .LBB17_70
.LBB17_68:                              ; =>This Inner Loop Header: Depth=1
	s_and_saveexec_b64 s[70:71], s[64:65]
	s_cbranch_execz .LBB17_67
; %bb.69:                               ;   in Loop: Header=BB17_68 Depth=1
	s_min_u32 s78, s76, 8
	v_lshrrev_b32_sdwa v37, s77, v4 dst_sel:DWORD dst_unused:UNUSED_PAD src0_sel:DWORD src1_sel:WORD_0
	v_bfe_u32 v37, v37, 0, s78
	v_lshl_add_u32 v37, v37, 4, v36
	ds_add_u32 v37, v5
	s_branch .LBB17_67
.LBB17_70:
	v_mov_b32_e32 v4, 0xffff8000
	v_cmp_lt_i16_e32 vcc, -1, v35
	s_movk_i32 s64, 0x7fff
	s_mov_b32 s70, s33
	v_cndmask_b32_e32 v5, -1, v4, vcc
	v_xor_b32_e32 v5, v5, v35
	v_cmp_ne_u16_e32 vcc, s64, v5
	v_mov_b32_e32 v35, v1
	s_mov_b32 s71, s72
	v_cndmask_b32_e32 v4, v4, v5, vcc
	v_mov_b32_e32 v5, 1
	s_branch .LBB17_72
.LBB17_71:                              ;   in Loop: Header=BB17_72 Depth=1
	s_or_b64 exec, exec, s[64:65]
	s_add_i32 s71, s71, 8
	s_add_i32 s70, s70, -8
	s_cmp_lt_u32 s71, s73
	v_add_u32_e32 v35, 0x1000, v35
	s_cbranch_scc0 .LBB17_74
.LBB17_72:                              ; =>This Inner Loop Header: Depth=1
	s_and_saveexec_b64 s[64:65], s[62:63]
	s_cbranch_execz .LBB17_71
; %bb.73:                               ;   in Loop: Header=BB17_72 Depth=1
	s_min_u32 s76, s70, 8
	v_lshrrev_b32_sdwa v36, s71, v4 dst_sel:DWORD dst_unused:UNUSED_PAD src0_sel:DWORD src1_sel:WORD_0
	v_bfe_u32 v36, v36, 0, s76
	v_lshl_add_u32 v36, v36, 4, v35
	ds_add_u32 v36, v5
	s_branch .LBB17_71
.LBB17_74:
	v_mov_b32_e32 v4, 0xffff8000
	v_cmp_lt_i16_e32 vcc, -1, v34
	s_movk_i32 s62, 0x7fff
	s_mov_b32 s64, s33
	v_cndmask_b32_e32 v5, -1, v4, vcc
	v_xor_b32_e32 v5, v5, v34
	v_cmp_ne_u16_e32 vcc, s62, v5
	v_mov_b32_e32 v34, v1
	s_mov_b32 s65, s72
	v_cndmask_b32_e32 v4, v4, v5, vcc
	v_mov_b32_e32 v5, 1
	s_branch .LBB17_76
.LBB17_75:                              ;   in Loop: Header=BB17_76 Depth=1
	s_or_b64 exec, exec, s[62:63]
	s_add_i32 s65, s65, 8
	s_add_i32 s64, s64, -8
	s_cmp_lt_u32 s65, s73
	v_add_u32_e32 v34, 0x1000, v34
	s_cbranch_scc0 .LBB17_78
.LBB17_76:                              ; =>This Inner Loop Header: Depth=1
	s_and_saveexec_b64 s[62:63], s[60:61]
	s_cbranch_execz .LBB17_75
; %bb.77:                               ;   in Loop: Header=BB17_76 Depth=1
	s_min_u32 s70, s64, 8
	v_lshrrev_b32_sdwa v35, s65, v4 dst_sel:DWORD dst_unused:UNUSED_PAD src0_sel:DWORD src1_sel:WORD_0
	v_bfe_u32 v35, v35, 0, s70
	v_lshl_add_u32 v35, v35, 4, v34
	ds_add_u32 v35, v5
	s_branch .LBB17_75
.LBB17_78:
	v_mov_b32_e32 v4, 0xffff8000
	v_cmp_lt_i16_e32 vcc, -1, v33
	s_movk_i32 s60, 0x7fff
	s_mov_b32 s62, s33
	v_cndmask_b32_e32 v5, -1, v4, vcc
	v_xor_b32_e32 v5, v5, v33
	v_cmp_ne_u16_e32 vcc, s60, v5
	v_mov_b32_e32 v33, v1
	s_mov_b32 s63, s72
	v_cndmask_b32_e32 v4, v4, v5, vcc
	v_mov_b32_e32 v5, 1
	s_branch .LBB17_80
.LBB17_79:                              ;   in Loop: Header=BB17_80 Depth=1
	s_or_b64 exec, exec, s[60:61]
	s_add_i32 s63, s63, 8
	s_add_i32 s62, s62, -8
	s_cmp_lt_u32 s63, s73
	v_add_u32_e32 v33, 0x1000, v33
	s_cbranch_scc0 .LBB17_82
.LBB17_80:                              ; =>This Inner Loop Header: Depth=1
	s_and_saveexec_b64 s[60:61], s[58:59]
	s_cbranch_execz .LBB17_79
; %bb.81:                               ;   in Loop: Header=BB17_80 Depth=1
	s_min_u32 s64, s62, 8
	v_lshrrev_b32_sdwa v34, s63, v4 dst_sel:DWORD dst_unused:UNUSED_PAD src0_sel:DWORD src1_sel:WORD_0
	v_bfe_u32 v34, v34, 0, s64
	v_lshl_add_u32 v34, v34, 4, v33
	ds_add_u32 v34, v5
	s_branch .LBB17_79
.LBB17_82:
	v_mov_b32_e32 v4, 0xffff8000
	v_cmp_lt_i16_e32 vcc, -1, v32
	s_movk_i32 s58, 0x7fff
	s_mov_b32 s60, s33
	v_cndmask_b32_e32 v5, -1, v4, vcc
	v_xor_b32_e32 v5, v5, v32
	v_cmp_ne_u16_e32 vcc, s58, v5
	v_mov_b32_e32 v32, v1
	s_mov_b32 s61, s72
	v_cndmask_b32_e32 v4, v4, v5, vcc
	v_mov_b32_e32 v5, 1
	s_branch .LBB17_84
.LBB17_83:                              ;   in Loop: Header=BB17_84 Depth=1
	s_or_b64 exec, exec, s[58:59]
	s_add_i32 s61, s61, 8
	s_add_i32 s60, s60, -8
	s_cmp_lt_u32 s61, s73
	v_add_u32_e32 v32, 0x1000, v32
	s_cbranch_scc0 .LBB17_86
.LBB17_84:                              ; =>This Inner Loop Header: Depth=1
	s_and_saveexec_b64 s[58:59], s[56:57]
	s_cbranch_execz .LBB17_83
; %bb.85:                               ;   in Loop: Header=BB17_84 Depth=1
	s_min_u32 s62, s60, 8
	v_lshrrev_b32_sdwa v33, s61, v4 dst_sel:DWORD dst_unused:UNUSED_PAD src0_sel:DWORD src1_sel:WORD_0
	v_bfe_u32 v33, v33, 0, s62
	v_lshl_add_u32 v33, v33, 4, v32
	ds_add_u32 v33, v5
	s_branch .LBB17_83
.LBB17_86:
	v_mov_b32_e32 v4, 0xffff8000
	v_cmp_lt_i16_e32 vcc, -1, v31
	s_movk_i32 s56, 0x7fff
	s_mov_b32 s58, s33
	v_cndmask_b32_e32 v5, -1, v4, vcc
	v_xor_b32_e32 v5, v5, v31
	v_cmp_ne_u16_e32 vcc, s56, v5
	v_mov_b32_e32 v31, v1
	s_mov_b32 s59, s72
	v_cndmask_b32_e32 v4, v4, v5, vcc
	v_mov_b32_e32 v5, 1
	s_branch .LBB17_88
.LBB17_87:                              ;   in Loop: Header=BB17_88 Depth=1
	s_or_b64 exec, exec, s[56:57]
	s_add_i32 s59, s59, 8
	s_add_i32 s58, s58, -8
	s_cmp_lt_u32 s59, s73
	v_add_u32_e32 v31, 0x1000, v31
	s_cbranch_scc0 .LBB17_90
.LBB17_88:                              ; =>This Inner Loop Header: Depth=1
	s_and_saveexec_b64 s[56:57], s[54:55]
	s_cbranch_execz .LBB17_87
; %bb.89:                               ;   in Loop: Header=BB17_88 Depth=1
	s_min_u32 s60, s58, 8
	v_lshrrev_b32_sdwa v32, s59, v4 dst_sel:DWORD dst_unused:UNUSED_PAD src0_sel:DWORD src1_sel:WORD_0
	v_bfe_u32 v32, v32, 0, s60
	v_lshl_add_u32 v32, v32, 4, v31
	ds_add_u32 v32, v5
	s_branch .LBB17_87
.LBB17_90:
	v_mov_b32_e32 v4, 0xffff8000
	v_cmp_lt_i16_e32 vcc, -1, v30
	s_movk_i32 s54, 0x7fff
	s_mov_b32 s56, s33
	v_cndmask_b32_e32 v5, -1, v4, vcc
	v_xor_b32_e32 v5, v5, v30
	v_cmp_ne_u16_e32 vcc, s54, v5
	v_mov_b32_e32 v30, v1
	s_mov_b32 s57, s72
	v_cndmask_b32_e32 v4, v4, v5, vcc
	v_mov_b32_e32 v5, 1
	s_branch .LBB17_92
.LBB17_91:                              ;   in Loop: Header=BB17_92 Depth=1
	s_or_b64 exec, exec, s[54:55]
	s_add_i32 s57, s57, 8
	s_add_i32 s56, s56, -8
	s_cmp_lt_u32 s57, s73
	v_add_u32_e32 v30, 0x1000, v30
	s_cbranch_scc0 .LBB17_94
.LBB17_92:                              ; =>This Inner Loop Header: Depth=1
	s_and_saveexec_b64 s[54:55], s[52:53]
	s_cbranch_execz .LBB17_91
; %bb.93:                               ;   in Loop: Header=BB17_92 Depth=1
	s_min_u32 s58, s56, 8
	v_lshrrev_b32_sdwa v31, s57, v4 dst_sel:DWORD dst_unused:UNUSED_PAD src0_sel:DWORD src1_sel:WORD_0
	v_bfe_u32 v31, v31, 0, s58
	v_lshl_add_u32 v31, v31, 4, v30
	ds_add_u32 v31, v5
	s_branch .LBB17_91
.LBB17_94:
	v_mov_b32_e32 v4, 0xffff8000
	v_cmp_lt_i16_e32 vcc, -1, v29
	s_movk_i32 s52, 0x7fff
	s_mov_b32 s54, s33
	v_cndmask_b32_e32 v5, -1, v4, vcc
	v_xor_b32_e32 v5, v5, v29
	v_cmp_ne_u16_e32 vcc, s52, v5
	v_mov_b32_e32 v29, v1
	s_mov_b32 s55, s72
	v_cndmask_b32_e32 v4, v4, v5, vcc
	v_mov_b32_e32 v5, 1
	s_branch .LBB17_96
.LBB17_95:                              ;   in Loop: Header=BB17_96 Depth=1
	s_or_b64 exec, exec, s[52:53]
	s_add_i32 s55, s55, 8
	s_add_i32 s54, s54, -8
	s_cmp_lt_u32 s55, s73
	v_add_u32_e32 v29, 0x1000, v29
	s_cbranch_scc0 .LBB17_98
.LBB17_96:                              ; =>This Inner Loop Header: Depth=1
	s_and_saveexec_b64 s[52:53], s[50:51]
	s_cbranch_execz .LBB17_95
; %bb.97:                               ;   in Loop: Header=BB17_96 Depth=1
	s_min_u32 s56, s54, 8
	v_lshrrev_b32_sdwa v30, s55, v4 dst_sel:DWORD dst_unused:UNUSED_PAD src0_sel:DWORD src1_sel:WORD_0
	v_bfe_u32 v30, v30, 0, s56
	v_lshl_add_u32 v30, v30, 4, v29
	ds_add_u32 v30, v5
	s_branch .LBB17_95
.LBB17_98:
	v_mov_b32_e32 v4, 0xffff8000
	v_cmp_lt_i16_e32 vcc, -1, v28
	s_movk_i32 s50, 0x7fff
	s_mov_b32 s52, s33
	v_cndmask_b32_e32 v5, -1, v4, vcc
	v_xor_b32_e32 v5, v5, v28
	v_cmp_ne_u16_e32 vcc, s50, v5
	v_mov_b32_e32 v28, v1
	s_mov_b32 s53, s72
	v_cndmask_b32_e32 v4, v4, v5, vcc
	v_mov_b32_e32 v5, 1
	s_branch .LBB17_100
.LBB17_99:                              ;   in Loop: Header=BB17_100 Depth=1
	s_or_b64 exec, exec, s[50:51]
	s_add_i32 s53, s53, 8
	s_add_i32 s52, s52, -8
	s_cmp_lt_u32 s53, s73
	v_add_u32_e32 v28, 0x1000, v28
	s_cbranch_scc0 .LBB17_102
.LBB17_100:                             ; =>This Inner Loop Header: Depth=1
	s_and_saveexec_b64 s[50:51], s[48:49]
	s_cbranch_execz .LBB17_99
; %bb.101:                              ;   in Loop: Header=BB17_100 Depth=1
	s_min_u32 s54, s52, 8
	v_lshrrev_b32_sdwa v29, s53, v4 dst_sel:DWORD dst_unused:UNUSED_PAD src0_sel:DWORD src1_sel:WORD_0
	v_bfe_u32 v29, v29, 0, s54
	v_lshl_add_u32 v29, v29, 4, v28
	ds_add_u32 v29, v5
	s_branch .LBB17_99
.LBB17_102:
	v_mov_b32_e32 v4, 0xffff8000
	v_cmp_lt_i16_e32 vcc, -1, v27
	s_movk_i32 s48, 0x7fff
	s_mov_b32 s50, s33
	v_cndmask_b32_e32 v5, -1, v4, vcc
	v_xor_b32_e32 v5, v5, v27
	v_cmp_ne_u16_e32 vcc, s48, v5
	v_mov_b32_e32 v27, v1
	s_mov_b32 s51, s72
	v_cndmask_b32_e32 v4, v4, v5, vcc
	v_mov_b32_e32 v5, 1
	s_branch .LBB17_104
.LBB17_103:                             ;   in Loop: Header=BB17_104 Depth=1
	s_or_b64 exec, exec, s[48:49]
	s_add_i32 s51, s51, 8
	s_add_i32 s50, s50, -8
	s_cmp_lt_u32 s51, s73
	v_add_u32_e32 v27, 0x1000, v27
	s_cbranch_scc0 .LBB17_106
.LBB17_104:                             ; =>This Inner Loop Header: Depth=1
	s_and_saveexec_b64 s[48:49], s[46:47]
	s_cbranch_execz .LBB17_103
; %bb.105:                              ;   in Loop: Header=BB17_104 Depth=1
	s_min_u32 s52, s50, 8
	v_lshrrev_b32_sdwa v28, s51, v4 dst_sel:DWORD dst_unused:UNUSED_PAD src0_sel:DWORD src1_sel:WORD_0
	v_bfe_u32 v28, v28, 0, s52
	v_lshl_add_u32 v28, v28, 4, v27
	ds_add_u32 v28, v5
	s_branch .LBB17_103
.LBB17_106:
	v_mov_b32_e32 v4, 0xffff8000
	v_cmp_lt_i16_e32 vcc, -1, v26
	s_movk_i32 s46, 0x7fff
	s_mov_b32 s48, s33
	v_cndmask_b32_e32 v5, -1, v4, vcc
	v_xor_b32_e32 v5, v5, v26
	v_cmp_ne_u16_e32 vcc, s46, v5
	v_mov_b32_e32 v26, v1
	s_mov_b32 s49, s72
	v_cndmask_b32_e32 v4, v4, v5, vcc
	v_mov_b32_e32 v5, 1
	s_branch .LBB17_108
.LBB17_107:                             ;   in Loop: Header=BB17_108 Depth=1
	s_or_b64 exec, exec, s[46:47]
	s_add_i32 s49, s49, 8
	s_add_i32 s48, s48, -8
	s_cmp_lt_u32 s49, s73
	v_add_u32_e32 v26, 0x1000, v26
	s_cbranch_scc0 .LBB17_110
.LBB17_108:                             ; =>This Inner Loop Header: Depth=1
	s_and_saveexec_b64 s[46:47], s[44:45]
	s_cbranch_execz .LBB17_107
; %bb.109:                              ;   in Loop: Header=BB17_108 Depth=1
	s_min_u32 s50, s48, 8
	v_lshrrev_b32_sdwa v27, s49, v4 dst_sel:DWORD dst_unused:UNUSED_PAD src0_sel:DWORD src1_sel:WORD_0
	v_bfe_u32 v27, v27, 0, s50
	v_lshl_add_u32 v27, v27, 4, v26
	ds_add_u32 v27, v5
	s_branch .LBB17_107
.LBB17_110:
	;; [unrolled: 30-line block ×22, first 2 shown]
	v_mov_b32_e32 v4, 0xffff8000
	v_cmp_lt_i16_e32 vcc, -1, v3
	s_movk_i32 s2, 0x7fff
	s_mov_b32 s4, s72
	v_cndmask_b32_e32 v5, -1, v4, vcc
	v_xor_b32_e32 v3, v5, v3
	v_cmp_ne_u16_e32 vcc, s2, v3
	s_nop 1
	v_cndmask_b32_e32 v3, v4, v3, vcc
	v_mov_b32_e32 v4, 1
	s_branch .LBB17_192
.LBB17_191:                             ;   in Loop: Header=BB17_192 Depth=1
	s_or_b64 exec, exec, s[2:3]
	s_add_i32 s4, s4, 8
	s_add_i32 s33, s33, -8
	s_cmp_lt_u32 s4, s73
	v_add_u32_e32 v1, 0x1000, v1
	s_cbranch_scc0 .LBB17_194
.LBB17_192:                             ; =>This Inner Loop Header: Depth=1
	s_and_saveexec_b64 s[2:3], s[0:1]
	s_cbranch_execz .LBB17_191
; %bb.193:                              ;   in Loop: Header=BB17_192 Depth=1
	s_min_u32 s5, s33, 8
	v_lshrrev_b32_sdwa v5, s4, v3 dst_sel:DWORD dst_unused:UNUSED_PAD src0_sel:DWORD src1_sel:WORD_0
	v_bfe_u32 v5, v5, 0, s5
	v_lshl_add_u32 v5, v5, 4, v1
	ds_add_u32 v5, v4
	s_branch .LBB17_191
.LBB17_194:
	s_and_b64 vcc, exec, s[68:69]
	s_waitcnt lgkmcnt(0)
	s_barrier
	s_cbranch_vccz .LBB17_199
; %bb.195:
	s_movk_i32 s0, 0x100
	v_cmp_gt_u32_e32 vcc, s0, v0
	s_waitcnt vmcnt(0)
	v_lshlrev_b32_e32 v1, 4, v0
	v_mov_b32_e32 v5, 0
	v_mov_b32_e32 v4, v0
	s_mov_b32 s2, s72
	s_branch .LBB17_197
.LBB17_196:                             ;   in Loop: Header=BB17_197 Depth=1
	s_or_b64 exec, exec, s[0:1]
	s_add_i32 s2, s2, 8
	v_add_u32_e32 v4, 0x100, v4
	s_cmp_lt_u32 s2, s73
	v_add_u32_e32 v1, 0x1000, v1
	s_cbranch_scc0 .LBB17_199
.LBB17_197:                             ; =>This Inner Loop Header: Depth=1
	s_and_saveexec_b64 s[0:1], vcc
	s_cbranch_execz .LBB17_196
; %bb.198:                              ;   in Loop: Header=BB17_197 Depth=1
	ds_read2_b32 v[6:7], v1 offset1:1
	ds_read2_b32 v[8:9], v1 offset0:2 offset1:3
	v_lshl_add_u64 v[10:11], v[4:5], 3, s[66:67]
	s_waitcnt lgkmcnt(1)
	v_add_u32_e32 v3, v7, v6
	s_waitcnt lgkmcnt(0)
	v_add3_u32 v6, v3, v8, v9
	v_mov_b32_e32 v7, v5
	global_atomic_add_x2 v[10:11], v[6:7], off
	s_branch .LBB17_196
.LBB17_199:
	s_mov_b64 s[0:1], 0
.LBB17_200:
	s_and_b64 vcc, exec, s[0:1]
	s_cbranch_vccz .LBB17_276
; %bb.201:
	s_waitcnt vmcnt(0)
	v_mov_b32_e32 v3, 0
	v_lshl_add_u64 v[4:5], s[74:75], 0, v[2:3]
	v_add_co_u32_e32 v14, vcc, 0x1000, v4
	global_load_ushort v1, v2, s[74:75] offset:2048
	s_nop 0
	v_addc_co_u32_e32 v15, vcc, 0, v5, vcc
	v_add_co_u32_e32 v16, vcc, 0x2000, v4
	s_cmp_eq_u32 s72, 0
	s_nop 0
	v_addc_co_u32_e32 v17, vcc, 0, v5, vcc
	v_add_co_u32_e32 v18, vcc, 0x3000, v4
	s_cselect_b64 s[0:1], -1, 0
	s_nop 0
	v_addc_co_u32_e32 v19, vcc, 0, v5, vcc
	v_add_co_u32_e32 v20, vcc, 0x4000, v4
	s_cmp_eq_u32 s73, 16
	s_nop 0
	v_addc_co_u32_e32 v21, vcc, 0, v5, vcc
	v_add_co_u32_e32 v22, vcc, 0x5000, v4
	global_load_ushort v13, v[14:15], off
	global_load_ushort v12, v[14:15], off offset:2048
	global_load_ushort v11, v[16:17], off
	global_load_ushort v10, v[16:17], off offset:2048
	;; [unrolled: 2-line block ×4, first 2 shown]
	v_addc_co_u32_e32 v23, vcc, 0, v5, vcc
	v_add_co_u32_e32 v24, vcc, 0x6000, v4
	s_cselect_b64 s[2:3], -1, 0
	s_nop 0
	v_addc_co_u32_e32 v25, vcc, 0, v5, vcc
	v_add_co_u32_e32 v26, vcc, 0x7000, v4
	s_and_b64 s[2:3], s[0:1], s[2:3]
	s_nop 0
	v_addc_co_u32_e32 v27, vcc, 0, v5, vcc
	v_add_co_u32_e32 v28, vcc, 0x8000, v4
	s_mov_b64 s[0:1], -1
	s_nop 0
	v_addc_co_u32_e32 v29, vcc, 0, v5, vcc
	v_add_co_u32_e32 v30, vcc, 0x9000, v4
	global_load_ushort v21, v[22:23], off
	global_load_ushort v20, v[22:23], off offset:2048
	global_load_ushort v19, v[24:25], off
	global_load_ushort v18, v[24:25], off offset:2048
	;; [unrolled: 2-line block ×4, first 2 shown]
	v_addc_co_u32_e32 v31, vcc, 0, v5, vcc
	v_add_co_u32_e32 v32, vcc, 0xa000, v4
	s_nop 1
	v_addc_co_u32_e32 v33, vcc, 0, v5, vcc
	v_add_co_u32_e32 v34, vcc, 0xb000, v4
	s_nop 1
	;; [unrolled: 3-line block ×3, first 2 shown]
	v_addc_co_u32_e32 v37, vcc, 0, v5, vcc
	global_load_ushort v29, v[30:31], off
	global_load_ushort v28, v[30:31], off offset:2048
	global_load_ushort v27, v[32:33], off
	global_load_ushort v26, v[32:33], off offset:2048
	;; [unrolled: 2-line block ×4, first 2 shown]
	v_add_co_u32_e32 v36, vcc, 0xd000, v4
	s_nop 1
	v_addc_co_u32_e32 v37, vcc, 0, v5, vcc
	v_add_co_u32_e32 v38, vcc, 0xe000, v4
	s_nop 1
	v_addc_co_u32_e32 v39, vcc, 0, v5, vcc
	v_add_co_u32_e32 v40, vcc, 0xf000, v4
	s_nop 1
	v_addc_co_u32_e32 v41, vcc, 0, v5, vcc
	global_load_ushort v33, v[36:37], off
	global_load_ushort v32, v[36:37], off offset:2048
	global_load_ushort v31, v[38:39], off
	global_load_ushort v5, v[38:39], off offset:2048
	global_load_ushort v30, v[40:41], off
	global_load_ushort v34, v2, s[74:75]
	global_load_ushort v4, v[40:41], off offset:2048
	v_lshlrev_b32_e32 v2, 2, v0
	s_and_b64 vcc, exec, s[2:3]
	ds_write2st64_b32 v2, v3, v3 offset1:16
	s_waitcnt lgkmcnt(0)
	s_cbranch_vccnz .LBB17_273
; %bb.202:
	s_cmp_gt_u32 s73, s72
	s_cselect_b64 s[0:1], -1, 0
	s_and_b64 vcc, exec, s[0:1]
	s_barrier
	s_cbranch_vccz .LBB17_267
; %bb.203:
	v_mov_b32_e32 v3, 0xffff8000
	s_waitcnt vmcnt(1)
	v_cmp_lt_i16_e32 vcc, -1, v34
	v_and_b32_e32 v2, 3, v0
	s_movk_i32 s2, 0x7fff
	v_cndmask_b32_e32 v35, -1, v3, vcc
	v_xor_b32_e32 v35, v35, v34
	v_cmp_ne_u16_e32 vcc, s2, v35
	v_lshlrev_b32_e32 v2, 2, v2
	s_sub_i32 s2, s73, s72
	v_cndmask_b32_e32 v3, v3, v35, vcc
	v_mov_b32_e32 v35, 1
	s_mov_b32 s3, s2
	v_mov_b32_e32 v36, v2
	s_mov_b32 s4, s72
.LBB17_204:                             ; =>This Inner Loop Header: Depth=1
	s_min_u32 s5, s3, 8
	v_lshrrev_b32_sdwa v37, s4, v3 dst_sel:DWORD dst_unused:UNUSED_PAD src0_sel:DWORD src1_sel:WORD_0
	v_bfe_u32 v37, v37, 0, s5
	v_lshl_add_u32 v37, v37, 4, v36
	ds_add_u32 v37, v35
	s_add_i32 s4, s4, 8
	s_add_i32 s3, s3, -8
	s_cmp_ge_u32 s4, s73
	v_add_u32_e32 v36, 0x1000, v36
	s_cbranch_scc0 .LBB17_204
; %bb.205:
	v_mov_b32_e32 v3, 0xffff8000
	v_cmp_lt_i16_e32 vcc, -1, v1
	s_movk_i32 s3, 0x7fff
	v_mov_b32_e32 v36, v2
	v_cndmask_b32_e32 v35, -1, v3, vcc
	v_xor_b32_e32 v35, v35, v1
	v_cmp_ne_u16_e32 vcc, s3, v35
	s_mov_b32 s3, s2
	s_mov_b32 s4, s72
	v_cndmask_b32_e32 v3, v3, v35, vcc
	v_mov_b32_e32 v35, 1
.LBB17_206:                             ; =>This Inner Loop Header: Depth=1
	s_min_u32 s5, s3, 8
	v_lshrrev_b32_sdwa v37, s4, v3 dst_sel:DWORD dst_unused:UNUSED_PAD src0_sel:DWORD src1_sel:WORD_0
	v_bfe_u32 v37, v37, 0, s5
	v_lshl_add_u32 v37, v37, 4, v36
	ds_add_u32 v37, v35
	s_add_i32 s4, s4, 8
	s_add_i32 s3, s3, -8
	s_cmp_lt_u32 s4, s73
	v_add_u32_e32 v36, 0x1000, v36
	s_cbranch_scc1 .LBB17_206
; %bb.207:
	v_mov_b32_e32 v3, 0xffff8000
	v_cmp_lt_i16_e32 vcc, -1, v13
	s_movk_i32 s3, 0x7fff
	v_mov_b32_e32 v36, v2
	v_cndmask_b32_e32 v35, -1, v3, vcc
	v_xor_b32_e32 v35, v35, v13
	v_cmp_ne_u16_e32 vcc, s3, v35
	s_mov_b32 s3, s2
	s_mov_b32 s4, s72
	v_cndmask_b32_e32 v3, v3, v35, vcc
	v_mov_b32_e32 v35, 1
.LBB17_208:                             ; =>This Inner Loop Header: Depth=1
	s_min_u32 s5, s3, 8
	v_lshrrev_b32_sdwa v37, s4, v3 dst_sel:DWORD dst_unused:UNUSED_PAD src0_sel:DWORD src1_sel:WORD_0
	v_bfe_u32 v37, v37, 0, s5
	v_lshl_add_u32 v37, v37, 4, v36
	ds_add_u32 v37, v35
	s_add_i32 s4, s4, 8
	s_add_i32 s3, s3, -8
	s_cmp_lt_u32 s4, s73
	v_add_u32_e32 v36, 0x1000, v36
	s_cbranch_scc1 .LBB17_208
	;; [unrolled: 23-line block ×30, first 2 shown]
; %bb.265:
	v_mov_b32_e32 v3, 0xffff8000
	s_waitcnt vmcnt(0)
	v_cmp_lt_i16_e32 vcc, -1, v4
	s_movk_i32 s3, 0x7fff
	s_nop 0
	v_cndmask_b32_e32 v35, -1, v3, vcc
	v_xor_b32_e32 v35, v35, v4
	v_cmp_ne_u16_e32 vcc, s3, v35
	s_mov_b32 s3, s72
	s_nop 0
	v_cndmask_b32_e32 v3, v3, v35, vcc
	v_mov_b32_e32 v35, 1
.LBB17_266:                             ; =>This Inner Loop Header: Depth=1
	s_min_u32 s4, s2, 8
	v_lshrrev_b32_sdwa v36, s3, v3 dst_sel:DWORD dst_unused:UNUSED_PAD src0_sel:DWORD src1_sel:WORD_0
	v_bfe_u32 v36, v36, 0, s4
	v_lshl_add_u32 v36, v36, 4, v2
	ds_add_u32 v36, v35
	s_add_i32 s3, s3, 8
	s_add_i32 s2, s2, -8
	s_cmp_lt_u32 s3, s73
	v_add_u32_e32 v2, 0x1000, v2
	s_cbranch_scc1 .LBB17_266
.LBB17_267:
	s_and_b64 vcc, exec, s[0:1]
	s_waitcnt lgkmcnt(0)
	s_barrier
	s_cbranch_vccz .LBB17_272
; %bb.268:
	s_movk_i32 s0, 0x100
	v_cmp_gt_u32_e32 vcc, s0, v0
	v_lshlrev_b32_e32 v35, 4, v0
	v_mov_b32_e32 v3, 0
	v_mov_b32_e32 v2, v0
	s_branch .LBB17_270
.LBB17_269:                             ;   in Loop: Header=BB17_270 Depth=1
	s_or_b64 exec, exec, s[0:1]
	s_add_i32 s72, s72, 8
	v_add_u32_e32 v2, 0x100, v2
	s_cmp_ge_u32 s72, s73
	v_add_u32_e32 v35, 0x1000, v35
	s_cbranch_scc1 .LBB17_272
.LBB17_270:                             ; =>This Inner Loop Header: Depth=1
	s_and_saveexec_b64 s[0:1], vcc
	s_cbranch_execz .LBB17_269
; %bb.271:                              ;   in Loop: Header=BB17_270 Depth=1
	ds_read2_b32 v[36:37], v35 offset1:1
	ds_read2_b32 v[38:39], v35 offset0:2 offset1:3
	v_lshl_add_u64 v[40:41], v[2:3], 3, s[66:67]
	s_waitcnt lgkmcnt(1)
	v_add_u32_e32 v36, v37, v36
	s_waitcnt lgkmcnt(0)
	v_add3_u32 v36, v36, v38, v39
	v_mov_b32_e32 v37, v3
	global_atomic_add_x2 v[40:41], v[36:37], off
	s_branch .LBB17_269
.LBB17_272:
	s_mov_b64 s[0:1], 0
.LBB17_273:
	s_and_b64 vcc, exec, s[0:1]
	s_cbranch_vccz .LBB17_276
; %bb.274:
	v_mov_b32_e32 v2, 0xffff8000
	s_waitcnt vmcnt(1)
	v_cmp_lt_i16_e32 vcc, -1, v34
	s_movk_i32 s0, 0x7fff
	s_movk_i32 s1, 0x3fc
	v_cndmask_b32_e32 v3, -1, v2, vcc
	v_cmp_lt_i16_e32 vcc, -1, v1
	v_xor_b32_e32 v34, v3, v34
	s_barrier
	v_cndmask_b32_e32 v3, -1, v2, vcc
	v_cmp_lt_i16_e32 vcc, -1, v13
	v_xor_b32_e32 v35, v3, v1
	s_nop 0
	v_cndmask_b32_e32 v1, -1, v2, vcc
	v_cmp_lt_i16_e32 vcc, -1, v12
	v_xor_b32_e32 v36, v1, v13
	s_nop 0
	;; [unrolled: 4-line block ×29, first 2 shown]
	v_cndmask_b32_e32 v1, -1, v2, vcc
	s_waitcnt vmcnt(0)
	v_cmp_lt_i16_e32 vcc, -1, v4
	v_xor_b32_e32 v5, v1, v30
	s_nop 0
	v_cndmask_b32_e32 v1, -1, v2, vcc
	v_cmp_ne_u16_e32 vcc, s0, v34
	v_xor_b32_e32 v3, v1, v4
	v_and_b32_e32 v1, 3, v0
	v_cndmask_b32_e32 v4, v2, v34, vcc
	v_and_b32_e32 v22, 0xffff, v4
	v_lshlrev_b32_e32 v4, 2, v22
	v_and_or_b32 v4, v4, s1, v1
	v_bfe_u32 v22, v22, 8, 8
	v_lshlrev_b32_e32 v23, 2, v4
	v_mov_b32_e32 v4, 1
	v_lshl_or_b32 v22, v22, 2, v1
	ds_add_u32 v23, v4
	v_lshlrev_b32_e32 v22, 2, v22
	v_cmp_ne_u16_e32 vcc, s0, v35
	ds_add_u32 v22, v4 offset:4096
	s_nop 0
	v_cndmask_b32_e32 v22, v2, v35, vcc
	v_and_b32_e32 v22, 0xffff, v22
	v_lshlrev_b32_e32 v23, 2, v22
	v_and_or_b32 v23, v23, s1, v1
	v_bfe_u32 v22, v22, 8, 8
	v_lshlrev_b32_e32 v23, 2, v23
	v_lshl_or_b32 v22, v22, 2, v1
	ds_add_u32 v23, v4
	v_lshlrev_b32_e32 v22, 2, v22
	v_cmp_ne_u16_e32 vcc, s0, v36
	ds_add_u32 v22, v4 offset:4096
	s_nop 0
	v_cndmask_b32_e32 v22, v2, v36, vcc
	v_and_b32_e32 v22, 0xffff, v22
	v_lshlrev_b32_e32 v23, 2, v22
	v_and_or_b32 v23, v23, s1, v1
	v_bfe_u32 v22, v22, 8, 8
	v_lshlrev_b32_e32 v23, 2, v23
	;; [unrolled: 12-line block ×8, first 2 shown]
	v_lshl_or_b32 v22, v22, 2, v1
	ds_add_u32 v23, v4
	v_lshlrev_b32_e32 v22, 2, v22
	v_cmp_ne_u16_e32 vcc, s0, v43
	ds_add_u32 v22, v4 offset:4096
	s_nop 0
	v_cndmask_b32_e32 v22, v2, v43, vcc
	v_and_b32_e32 v22, 0xffff, v22
	v_lshlrev_b32_e32 v23, 2, v22
	v_and_or_b32 v23, v23, s1, v1
	v_bfe_u32 v22, v22, 8, 8
	v_cmp_ne_u16_e32 vcc, s0, v21
	v_lshlrev_b32_e32 v23, 2, v23
	v_lshl_or_b32 v22, v22, 2, v1
	v_cndmask_b32_e32 v21, v2, v21, vcc
	ds_add_u32 v23, v4
	v_lshlrev_b32_e32 v22, 2, v22
	v_and_b32_e32 v21, 0xffff, v21
	ds_add_u32 v22, v4 offset:4096
	v_lshlrev_b32_e32 v22, 2, v21
	v_and_or_b32 v22, v22, s1, v1
	v_bfe_u32 v21, v21, 8, 8
	v_cmp_ne_u16_e32 vcc, s0, v20
	v_lshlrev_b32_e32 v22, 2, v22
	v_lshl_or_b32 v21, v21, 2, v1
	v_cndmask_b32_e32 v20, v2, v20, vcc
	ds_add_u32 v22, v4
	v_lshlrev_b32_e32 v21, 2, v21
	v_and_b32_e32 v20, 0xffff, v20
	ds_add_u32 v21, v4 offset:4096
	;; [unrolled: 11-line block ×5, first 2 shown]
	v_lshlrev_b32_e32 v18, 2, v17
	v_and_or_b32 v18, v18, s1, v1
	v_bfe_u32 v17, v17, 8, 8
	v_lshlrev_b32_e32 v18, 2, v18
	v_lshl_or_b32 v17, v17, 2, v1
	ds_add_u32 v18, v4
	v_lshlrev_b32_e32 v17, 2, v17
	v_cmp_ne_u16_e32 vcc, s0, v44
	ds_add_u32 v17, v4 offset:4096
	s_nop 0
	v_cndmask_b32_e32 v17, v2, v44, vcc
	v_and_b32_e32 v17, 0xffff, v17
	v_lshlrev_b32_e32 v18, 2, v17
	v_and_or_b32 v18, v18, s1, v1
	v_bfe_u32 v17, v17, 8, 8
	v_cmp_ne_u16_e32 vcc, s0, v16
	v_lshlrev_b32_e32 v18, 2, v18
	v_lshl_or_b32 v17, v17, 2, v1
	v_cndmask_b32_e32 v16, v2, v16, vcc
	ds_add_u32 v18, v4
	v_lshlrev_b32_e32 v17, 2, v17
	v_and_b32_e32 v16, 0xffff, v16
	ds_add_u32 v17, v4 offset:4096
	v_lshlrev_b32_e32 v17, 2, v16
	v_and_or_b32 v17, v17, s1, v1
	v_bfe_u32 v16, v16, 8, 8
	v_lshlrev_b32_e32 v17, 2, v17
	v_lshl_or_b32 v16, v16, 2, v1
	ds_add_u32 v17, v4
	v_lshlrev_b32_e32 v16, 2, v16
	v_cmp_ne_u16_e32 vcc, s0, v45
	ds_add_u32 v16, v4 offset:4096
	s_nop 0
	v_cndmask_b32_e32 v16, v2, v45, vcc
	v_and_b32_e32 v16, 0xffff, v16
	v_lshlrev_b32_e32 v17, 2, v16
	v_and_or_b32 v17, v17, s1, v1
	v_bfe_u32 v16, v16, 8, 8
	v_lshlrev_b32_e32 v17, 2, v17
	v_lshl_or_b32 v16, v16, 2, v1
	ds_add_u32 v17, v4
	v_lshlrev_b32_e32 v16, 2, v16
	v_cmp_ne_u16_e32 vcc, s0, v29
	ds_add_u32 v16, v4 offset:4096
	s_nop 0
	v_cndmask_b32_e32 v16, v2, v29, vcc
	v_and_b32_e32 v16, 0xffff, v16
	;; [unrolled: 12-line block ×3, first 2 shown]
	v_lshlrev_b32_e32 v17, 2, v16
	v_and_or_b32 v17, v17, s1, v1
	v_bfe_u32 v16, v16, 8, 8
	v_cmp_ne_u16_e32 vcc, s0, v15
	v_lshlrev_b32_e32 v17, 2, v17
	v_lshl_or_b32 v16, v16, 2, v1
	v_cndmask_b32_e32 v15, v2, v15, vcc
	ds_add_u32 v17, v4
	v_lshlrev_b32_e32 v16, 2, v16
	v_and_b32_e32 v15, 0xffff, v15
	ds_add_u32 v16, v4 offset:4096
	v_lshlrev_b32_e32 v16, 2, v15
	v_and_or_b32 v16, v16, s1, v1
	v_bfe_u32 v15, v15, 8, 8
	v_cmp_ne_u16_e32 vcc, s0, v14
	v_lshlrev_b32_e32 v16, 2, v16
	v_lshl_or_b32 v15, v15, 2, v1
	v_cndmask_b32_e32 v14, v2, v14, vcc
	ds_add_u32 v16, v4
	v_lshlrev_b32_e32 v15, 2, v15
	v_and_b32_e32 v14, 0xffff, v14
	ds_add_u32 v15, v4 offset:4096
	;; [unrolled: 11-line block ×10, first 2 shown]
	v_lshlrev_b32_e32 v7, 2, v6
	v_and_or_b32 v7, v7, s1, v1
	v_bfe_u32 v6, v6, 8, 8
	v_cmp_ne_u16_e32 vcc, s0, v5
	v_lshlrev_b32_e32 v7, 2, v7
	v_lshl_or_b32 v6, v6, 2, v1
	v_cndmask_b32_e32 v5, v2, v5, vcc
	ds_add_u32 v7, v4
	v_lshlrev_b32_e32 v6, 2, v6
	v_and_b32_e32 v5, 0xffff, v5
	v_cmp_ne_u16_e32 vcc, s0, v3
	ds_add_u32 v6, v4 offset:4096
	v_lshlrev_b32_e32 v6, 2, v5
	v_cndmask_b32_e32 v2, v2, v3, vcc
	v_and_or_b32 v6, v6, s1, v1
	v_bfe_u32 v5, v5, 8, 8
	v_and_b32_e32 v2, 0xffff, v2
	v_lshlrev_b32_e32 v6, 2, v6
	v_lshl_or_b32 v5, v5, 2, v1
	v_lshlrev_b32_e32 v3, 2, v2
	ds_add_u32 v6, v4
	v_lshlrev_b32_e32 v5, 2, v5
	v_and_or_b32 v3, v3, s1, v1
	v_bfe_u32 v2, v2, 8, 8
	ds_add_u32 v5, v4 offset:4096
	v_lshlrev_b32_e32 v3, 2, v3
	v_lshl_or_b32 v1, v2, 2, v1
	ds_add_u32 v3, v4
	v_lshlrev_b32_e32 v1, 2, v1
	ds_add_u32 v1, v4 offset:4096
	s_movk_i32 s0, 0x100
	v_cmp_gt_u32_e32 vcc, s0, v0
	s_waitcnt lgkmcnt(0)
	s_barrier
	s_and_saveexec_b64 s[0:1], vcc
	s_cbranch_execz .LBB17_276
; %bb.275:
	v_lshlrev_b32_e32 v6, 4, v0
	ds_read2_b32 v[2:3], v6 offset1:1
	ds_read2_b32 v[4:5], v6 offset0:2 offset1:3
	v_lshlrev_b32_e32 v7, 3, v0
	v_mov_b32_e32 v1, 0
	v_add_u32_e32 v8, 0x1000, v6
	s_waitcnt lgkmcnt(1)
	v_add_u32_e32 v0, v3, v2
	s_waitcnt lgkmcnt(0)
	v_add3_u32 v0, v0, v4, v5
	global_atomic_add_x2 v7, v[0:1], s[66:67]
	v_add_u32_e32 v0, 0x1008, v6
	ds_read2_b32 v[2:3], v8 offset1:1
	ds_read2_b32 v[4:5], v0 offset1:1
	s_waitcnt lgkmcnt(1)
	v_add_u32_e32 v0, v3, v2
	s_waitcnt lgkmcnt(0)
	v_add3_u32 v0, v0, v4, v5
	global_atomic_add_x2 v7, v[0:1], s[66:67] offset:2048
.LBB17_276:
	s_endpgm
	.section	.rodata,"a",@progbits
	.p2align	6, 0x0
	.amdhsa_kernel _ZN7rocprim17ROCPRIM_304000_NS6detail26onesweep_histograms_kernelINS1_34wrapped_radix_sort_onesweep_configINS0_14default_configE12hip_bfloat16N2at4cuda3cub6detail10OpaqueTypeILi8EEEEELb0EPKS5_mNS0_19identity_decomposerEEEvT1_PT2_SH_SH_T3_jj
		.amdhsa_group_segment_fixed_size 8192
		.amdhsa_private_segment_fixed_size 0
		.amdhsa_kernarg_size 44
		.amdhsa_user_sgpr_count 2
		.amdhsa_user_sgpr_dispatch_ptr 0
		.amdhsa_user_sgpr_queue_ptr 0
		.amdhsa_user_sgpr_kernarg_segment_ptr 1
		.amdhsa_user_sgpr_dispatch_id 0
		.amdhsa_user_sgpr_kernarg_preload_length 0
		.amdhsa_user_sgpr_kernarg_preload_offset 0
		.amdhsa_user_sgpr_private_segment_size 0
		.amdhsa_uses_dynamic_stack 0
		.amdhsa_enable_private_segment 0
		.amdhsa_system_sgpr_workgroup_id_x 1
		.amdhsa_system_sgpr_workgroup_id_y 0
		.amdhsa_system_sgpr_workgroup_id_z 0
		.amdhsa_system_sgpr_workgroup_info 0
		.amdhsa_system_vgpr_workitem_id 0
		.amdhsa_next_free_vgpr 46
		.amdhsa_next_free_sgpr 79
		.amdhsa_accum_offset 48
		.amdhsa_reserve_vcc 1
		.amdhsa_float_round_mode_32 0
		.amdhsa_float_round_mode_16_64 0
		.amdhsa_float_denorm_mode_32 3
		.amdhsa_float_denorm_mode_16_64 3
		.amdhsa_dx10_clamp 1
		.amdhsa_ieee_mode 1
		.amdhsa_fp16_overflow 0
		.amdhsa_tg_split 0
		.amdhsa_exception_fp_ieee_invalid_op 0
		.amdhsa_exception_fp_denorm_src 0
		.amdhsa_exception_fp_ieee_div_zero 0
		.amdhsa_exception_fp_ieee_overflow 0
		.amdhsa_exception_fp_ieee_underflow 0
		.amdhsa_exception_fp_ieee_inexact 0
		.amdhsa_exception_int_div_zero 0
	.end_amdhsa_kernel
	.section	.text._ZN7rocprim17ROCPRIM_304000_NS6detail26onesweep_histograms_kernelINS1_34wrapped_radix_sort_onesweep_configINS0_14default_configE12hip_bfloat16N2at4cuda3cub6detail10OpaqueTypeILi8EEEEELb0EPKS5_mNS0_19identity_decomposerEEEvT1_PT2_SH_SH_T3_jj,"axG",@progbits,_ZN7rocprim17ROCPRIM_304000_NS6detail26onesweep_histograms_kernelINS1_34wrapped_radix_sort_onesweep_configINS0_14default_configE12hip_bfloat16N2at4cuda3cub6detail10OpaqueTypeILi8EEEEELb0EPKS5_mNS0_19identity_decomposerEEEvT1_PT2_SH_SH_T3_jj,comdat
.Lfunc_end17:
	.size	_ZN7rocprim17ROCPRIM_304000_NS6detail26onesweep_histograms_kernelINS1_34wrapped_radix_sort_onesweep_configINS0_14default_configE12hip_bfloat16N2at4cuda3cub6detail10OpaqueTypeILi8EEEEELb0EPKS5_mNS0_19identity_decomposerEEEvT1_PT2_SH_SH_T3_jj, .Lfunc_end17-_ZN7rocprim17ROCPRIM_304000_NS6detail26onesweep_histograms_kernelINS1_34wrapped_radix_sort_onesweep_configINS0_14default_configE12hip_bfloat16N2at4cuda3cub6detail10OpaqueTypeILi8EEEEELb0EPKS5_mNS0_19identity_decomposerEEEvT1_PT2_SH_SH_T3_jj
                                        ; -- End function
	.section	.AMDGPU.csdata,"",@progbits
; Kernel info:
; codeLenInByte = 13120
; NumSgprs: 85
; NumVgprs: 46
; NumAgprs: 0
; TotalNumVgprs: 46
; ScratchSize: 0
; MemoryBound: 0
; FloatMode: 240
; IeeeMode: 1
; LDSByteSize: 8192 bytes/workgroup (compile time only)
; SGPRBlocks: 10
; VGPRBlocks: 5
; NumSGPRsForWavesPerEU: 85
; NumVGPRsForWavesPerEU: 46
; AccumOffset: 48
; Occupancy: 8
; WaveLimiterHint : 1
; COMPUTE_PGM_RSRC2:SCRATCH_EN: 0
; COMPUTE_PGM_RSRC2:USER_SGPR: 2
; COMPUTE_PGM_RSRC2:TRAP_HANDLER: 0
; COMPUTE_PGM_RSRC2:TGID_X_EN: 1
; COMPUTE_PGM_RSRC2:TGID_Y_EN: 0
; COMPUTE_PGM_RSRC2:TGID_Z_EN: 0
; COMPUTE_PGM_RSRC2:TIDIG_COMP_CNT: 0
; COMPUTE_PGM_RSRC3_GFX90A:ACCUM_OFFSET: 11
; COMPUTE_PGM_RSRC3_GFX90A:TG_SPLIT: 0
	.section	.text._ZN7rocprim17ROCPRIM_304000_NS6detail25onesweep_iteration_kernelINS1_34wrapped_radix_sort_onesweep_configINS0_14default_configE12hip_bfloat16N2at4cuda3cub6detail10OpaqueTypeILi8EEEEELb0EPKS5_PS5_PKSB_PSB_mNS0_19identity_decomposerEEEvT1_T2_T3_T4_jPT5_SP_PNS1_23onesweep_lookback_stateET6_jjj,"axG",@progbits,_ZN7rocprim17ROCPRIM_304000_NS6detail25onesweep_iteration_kernelINS1_34wrapped_radix_sort_onesweep_configINS0_14default_configE12hip_bfloat16N2at4cuda3cub6detail10OpaqueTypeILi8EEEEELb0EPKS5_PS5_PKSB_PSB_mNS0_19identity_decomposerEEEvT1_T2_T3_T4_jPT5_SP_PNS1_23onesweep_lookback_stateET6_jjj,comdat
	.protected	_ZN7rocprim17ROCPRIM_304000_NS6detail25onesweep_iteration_kernelINS1_34wrapped_radix_sort_onesweep_configINS0_14default_configE12hip_bfloat16N2at4cuda3cub6detail10OpaqueTypeILi8EEEEELb0EPKS5_PS5_PKSB_PSB_mNS0_19identity_decomposerEEEvT1_T2_T3_T4_jPT5_SP_PNS1_23onesweep_lookback_stateET6_jjj ; -- Begin function _ZN7rocprim17ROCPRIM_304000_NS6detail25onesweep_iteration_kernelINS1_34wrapped_radix_sort_onesweep_configINS0_14default_configE12hip_bfloat16N2at4cuda3cub6detail10OpaqueTypeILi8EEEEELb0EPKS5_PS5_PKSB_PSB_mNS0_19identity_decomposerEEEvT1_T2_T3_T4_jPT5_SP_PNS1_23onesweep_lookback_stateET6_jjj
	.globl	_ZN7rocprim17ROCPRIM_304000_NS6detail25onesweep_iteration_kernelINS1_34wrapped_radix_sort_onesweep_configINS0_14default_configE12hip_bfloat16N2at4cuda3cub6detail10OpaqueTypeILi8EEEEELb0EPKS5_PS5_PKSB_PSB_mNS0_19identity_decomposerEEEvT1_T2_T3_T4_jPT5_SP_PNS1_23onesweep_lookback_stateET6_jjj
	.p2align	8
	.type	_ZN7rocprim17ROCPRIM_304000_NS6detail25onesweep_iteration_kernelINS1_34wrapped_radix_sort_onesweep_configINS0_14default_configE12hip_bfloat16N2at4cuda3cub6detail10OpaqueTypeILi8EEEEELb0EPKS5_PS5_PKSB_PSB_mNS0_19identity_decomposerEEEvT1_T2_T3_T4_jPT5_SP_PNS1_23onesweep_lookback_stateET6_jjj,@function
_ZN7rocprim17ROCPRIM_304000_NS6detail25onesweep_iteration_kernelINS1_34wrapped_radix_sort_onesweep_configINS0_14default_configE12hip_bfloat16N2at4cuda3cub6detail10OpaqueTypeILi8EEEEELb0EPKS5_PS5_PKSB_PSB_mNS0_19identity_decomposerEEEvT1_T2_T3_T4_jPT5_SP_PNS1_23onesweep_lookback_stateET6_jjj: ; @_ZN7rocprim17ROCPRIM_304000_NS6detail25onesweep_iteration_kernelINS1_34wrapped_radix_sort_onesweep_configINS0_14default_configE12hip_bfloat16N2at4cuda3cub6detail10OpaqueTypeILi8EEEEELb0EPKS5_PS5_PKSB_PSB_mNS0_19identity_decomposerEEEvT1_T2_T3_T4_jPT5_SP_PNS1_23onesweep_lookback_stateET6_jjj
; %bb.0:
	s_load_dwordx4 s[48:51], s[0:1], 0x44
	s_load_dwordx8 s[36:43], s[0:1], 0x0
	s_load_dwordx4 s[44:47], s[0:1], 0x28
	s_load_dwordx2 s[34:35], s[0:1], 0x38
	s_mul_i32 s30, s2, 0x1800
	s_waitcnt lgkmcnt(0)
	s_cmp_ge_u32 s2, s50
	v_mbcnt_lo_u32_b32 v1, -1, 0
	s_cbranch_scc0 .LBB18_86
; %bb.1:
	s_load_dword s3, s[0:1], 0x20
	s_mulk_i32 s50, 0xe800
	s_mov_b32 s31, 0
	v_and_b32_e32 v2, 0x3ff, v0
	s_lshl_b64 s[4:5], s[30:31], 1
	s_waitcnt lgkmcnt(0)
	s_add_i32 s50, s50, s3
	s_add_u32 s4, s36, s4
	v_mbcnt_hi_u32_b32 v14, -1, v1
	v_and_b32_e32 v3, 0x3c0, v2
	s_addc_u32 s5, s37, s5
	v_mul_u32_u24_e32 v3, 6, v3
	v_mov_b32_e32 v5, 0
	v_lshlrev_b32_e32 v4, 1, v14
	v_lshl_add_u64 v[6:7], s[4:5], 0, v[4:5]
	v_lshlrev_b32_e32 v4, 1, v3
	v_lshl_add_u64 v[4:5], v[6:7], 0, v[4:5]
	v_or_b32_e32 v7, v14, v3
	v_cmp_gt_u32_e32 vcc, s50, v7
	v_mov_b32_e32 v11, 0x7fff
	v_mov_b32_e32 v6, 0x7fff
	s_and_saveexec_b64 s[4:5], vcc
	s_cbranch_execz .LBB18_3
; %bb.2:
	global_load_ushort v6, v[4:5], off
.LBB18_3:
	s_or_b64 exec, exec, s[4:5]
	v_add_u32_e32 v8, 64, v7
	v_cmp_gt_u32_e64 s[26:27], s50, v8
	s_and_saveexec_b64 s[4:5], s[26:27]
	s_cbranch_execz .LBB18_5
; %bb.4:
	global_load_ushort v11, v[4:5], off offset:128
.LBB18_5:
	s_or_b64 exec, exec, s[4:5]
	v_add_u32_e32 v8, 0x80, v7
	v_cmp_gt_u32_e64 s[4:5], s50, v8
	v_mov_b32_e32 v23, 0x7fff
	v_mov_b32_e32 v18, 0x7fff
	s_and_saveexec_b64 s[6:7], s[4:5]
	s_cbranch_execz .LBB18_7
; %bb.6:
	global_load_ushort v18, v[4:5], off offset:256
.LBB18_7:
	s_or_b64 exec, exec, s[6:7]
	v_add_u32_e32 v8, 0xc0, v7
	v_cmp_gt_u32_e64 s[6:7], s50, v8
	s_and_saveexec_b64 s[8:9], s[6:7]
	s_cbranch_execz .LBB18_9
; %bb.8:
	global_load_ushort v23, v[4:5], off offset:384
.LBB18_9:
	s_or_b64 exec, exec, s[8:9]
	v_add_u32_e32 v8, 0x100, v7
	v_cmp_gt_u32_e64 s[8:9], s50, v8
	v_mov_b32_e32 v15, 0x7fff
	v_mov_b32_e32 v20, 0x7fff
	s_and_saveexec_b64 s[10:11], s[8:9]
	s_cbranch_execz .LBB18_11
; %bb.10:
	global_load_ushort v20, v[4:5], off offset:512
.LBB18_11:
	s_or_b64 exec, exec, s[10:11]
	v_add_u32_e32 v7, 0x140, v7
	v_cmp_gt_u32_e64 s[10:11], s50, v7
	s_and_saveexec_b64 s[12:13], s[10:11]
	s_cbranch_execz .LBB18_13
; %bb.12:
	global_load_ushort v15, v[4:5], off offset:640
.LBB18_13:
	s_or_b64 exec, exec, s[12:13]
	s_load_dword s12, s[0:1], 0x5c
	s_load_dword s3, s[0:1], 0x50
	s_add_u32 s13, s0, 0x50
	s_addc_u32 s14, s1, 0
	v_mov_b32_e32 v5, 0
	s_waitcnt lgkmcnt(0)
	s_lshr_b32 s15, s12, 16
	s_cmp_lt_u32 s2, s3
	s_cselect_b32 s12, 12, 18
	s_add_u32 s12, s13, s12
	s_addc_u32 s13, s14, 0
	global_load_ushort v10, v5, s[12:13]
	v_mov_b32_e32 v12, 0xffff8000
	s_waitcnt vmcnt(1)
	v_cmp_lt_i16_e64 s[12:13], -1, v6
	s_movk_i32 s28, 0x7fff
	v_bfe_u32 v4, v0, 10, 10
	v_cndmask_b32_e64 v9, -1, v12, s[12:13]
	v_xor_b32_e32 v9, v9, v6
	v_cmp_ne_u16_e64 s[12:13], s28, v9
	v_bfe_u32 v7, v0, 20, 10
	v_mad_u32_u24 v13, v7, s15, v4
	v_cndmask_b32_e64 v6, v12, v9, s[12:13]
	s_lshl_b32 s12, -1, s49
	v_lshrrev_b32_sdwa v6, s48, v6 dst_sel:DWORD dst_unused:UNUSED_PAD src0_sel:DWORD src1_sel:WORD_0
	s_not_b32 s33, s12
	v_and_b32_e32 v19, s33, v6
	v_and_b32_e32 v4, 1, v19
	v_lshlrev_b32_e32 v17, 30, v19
	v_mov_b32_e32 v16, v5
	v_lshlrev_b32_e32 v25, 29, v19
	v_lshl_add_u64 v[6:7], v[4:5], 0, -1
	v_cmp_ne_u32_e64 s[12:13], 0, v4
	v_not_b32_e32 v4, v17
	v_mov_b32_e32 v24, v5
	v_lshlrev_b32_e32 v27, 28, v19
	v_cmp_gt_i64_e64 s[14:15], 0, v[16:17]
	v_not_b32_e32 v16, v25
	v_xor_b32_e32 v7, s13, v7
	v_ashrrev_i32_e32 v4, 31, v4
	v_mov_b32_e32 v26, v5
	v_lshlrev_b32_e32 v29, 27, v19
	v_cmp_gt_i64_e64 s[16:17], 0, v[24:25]
	v_not_b32_e32 v17, v27
	v_xor_b32_e32 v6, s12, v6
	v_ashrrev_i32_e32 v16, 31, v16
	v_and_b32_e32 v7, exec_hi, v7
	v_xor_b32_e32 v25, s15, v4
	v_mov_b32_e32 v28, v5
	v_lshlrev_b32_e32 v31, 26, v19
	v_cmp_gt_i64_e64 s[18:19], 0, v[26:27]
	v_not_b32_e32 v22, v29
	v_ashrrev_i32_e32 v17, 31, v17
	v_and_b32_e32 v6, exec_lo, v6
	v_xor_b32_e32 v4, s14, v4
	v_xor_b32_e32 v26, s17, v16
	v_and_b32_e32 v7, v7, v25
	v_mov_b32_e32 v30, v5
	v_cmp_gt_i64_e64 s[20:21], 0, v[28:29]
	v_not_b32_e32 v24, v31
	v_ashrrev_i32_e32 v22, 31, v22
	v_xor_b32_e32 v16, s16, v16
	v_xor_b32_e32 v27, s19, v17
	v_and_b32_e32 v4, v6, v4
	v_and_b32_e32 v6, v7, v26
	v_cmp_gt_i64_e64 s[22:23], 0, v[30:31]
	v_ashrrev_i32_e32 v24, 31, v24
	v_xor_b32_e32 v17, s18, v17
	v_xor_b32_e32 v28, s21, v22
	v_and_b32_e32 v4, v4, v16
	v_and_b32_e32 v6, v6, v27
	v_xor_b32_e32 v22, s20, v22
	v_xor_b32_e32 v29, s23, v24
	v_and_b32_e32 v4, v4, v17
	v_and_b32_e32 v6, v6, v28
	v_lshlrev_b32_e32 v33, 25, v19
	v_xor_b32_e32 v24, s22, v24
	v_and_b32_e32 v4, v4, v22
	v_and_b32_e32 v16, v6, v29
	v_mov_b32_e32 v32, v5
	v_and_b32_e32 v4, v4, v24
	v_cmp_gt_i64_e64 s[24:25], 0, v[32:33]
	v_mul_u32_u24_e32 v8, 5, v2
	v_mul_u32_u24_e32 v21, 17, v19
	v_lshlrev_b32_e32 v8, 2, v8
	ds_write2_b32 v8, v5, v5 offset0:16 offset1:17
	ds_write2_b32 v8, v5, v5 offset0:18 offset1:19
	ds_write_b32 v8, v5 offset:80
	s_waitcnt lgkmcnt(0)
	s_barrier
	s_waitcnt lgkmcnt(0)
	; wave barrier
	s_waitcnt vmcnt(0)
	v_mad_u64_u32 v[6:7], s[12:13], v13, v10, v[2:3]
	v_lshrrev_b32_e32 v24, 6, v6
	v_not_b32_e32 v6, v33
	v_ashrrev_i32_e32 v6, 31, v6
	v_xor_b32_e32 v7, s25, v6
	v_xor_b32_e32 v6, s24, v6
	v_and_b32_e32 v10, v16, v7
	v_and_b32_e32 v4, v4, v6
	v_lshlrev_b32_e32 v7, 24, v19
	v_mov_b32_e32 v6, v5
	v_cmp_gt_i64_e64 s[12:13], 0, v[6:7]
	v_not_b32_e32 v6, v7
	v_ashrrev_i32_e32 v6, 31, v6
	v_xor_b32_e32 v7, s13, v6
	v_xor_b32_e32 v6, s12, v6
	v_and_b32_e32 v6, v4, v6
	v_and_b32_e32 v7, v10, v7
	v_mbcnt_lo_u32_b32 v4, v6, 0
	v_mbcnt_hi_u32_b32 v10, v7, v4
	v_cmp_eq_u32_e64 s[12:13], 0, v10
	v_cmp_ne_u64_e64 s[14:15], 0, v[6:7]
	v_add_lshl_u32 v13, v24, v21, 2
	s_and_b64 s[14:15], s[14:15], s[12:13]
	s_and_saveexec_b64 s[12:13], s[14:15]
	s_cbranch_execz .LBB18_15
; %bb.14:
	v_bcnt_u32_b32 v4, v6, 0
	v_bcnt_u32_b32 v4, v7, v4
	ds_write_b32 v13, v4 offset:64
.LBB18_15:
	s_or_b64 exec, exec, s[12:13]
	v_cmp_lt_i16_e64 s[12:13], -1, v11
	; wave barrier
	s_nop 1
	v_cndmask_b32_e64 v4, -1, v12, s[12:13]
	v_xor_b32_e32 v11, v4, v11
	v_cmp_ne_u16_e64 s[12:13], s28, v11
	s_nop 1
	v_cndmask_b32_e64 v4, v12, v11, s[12:13]
	v_lshrrev_b32_sdwa v4, s48, v4 dst_sel:DWORD dst_unused:UNUSED_PAD src0_sel:DWORD src1_sel:WORD_0
	v_and_b32_e32 v17, s33, v4
	v_mul_u32_u24_e32 v4, 17, v17
	v_add_lshl_u32 v16, v24, v4, 2
	v_and_b32_e32 v4, 1, v17
	v_lshl_add_u64 v[6:7], v[4:5], 0, -1
	v_cmp_ne_u32_e64 s[12:13], 0, v4
	ds_read_b32 v12, v16 offset:64
	s_nop 0
	v_xor_b32_e32 v6, s12, v6
	v_xor_b32_e32 v4, s13, v7
	v_and_b32_e32 v19, exec_lo, v6
	v_lshlrev_b32_e32 v7, 30, v17
	v_mov_b32_e32 v6, v5
	v_cmp_gt_i64_e64 s[12:13], 0, v[6:7]
	v_not_b32_e32 v6, v7
	v_ashrrev_i32_e32 v6, 31, v6
	v_and_b32_e32 v4, exec_hi, v4
	v_xor_b32_e32 v7, s13, v6
	v_xor_b32_e32 v6, s12, v6
	v_and_b32_e32 v4, v4, v7
	v_and_b32_e32 v19, v19, v6
	v_lshlrev_b32_e32 v7, 29, v17
	v_mov_b32_e32 v6, v5
	v_cmp_gt_i64_e64 s[12:13], 0, v[6:7]
	v_not_b32_e32 v6, v7
	v_ashrrev_i32_e32 v6, 31, v6
	v_xor_b32_e32 v7, s13, v6
	v_xor_b32_e32 v6, s12, v6
	v_and_b32_e32 v4, v4, v7
	v_and_b32_e32 v19, v19, v6
	v_lshlrev_b32_e32 v7, 28, v17
	v_mov_b32_e32 v6, v5
	v_cmp_gt_i64_e64 s[12:13], 0, v[6:7]
	v_not_b32_e32 v6, v7
	v_ashrrev_i32_e32 v6, 31, v6
	;; [unrolled: 9-line block ×5, first 2 shown]
	v_xor_b32_e32 v7, s13, v6
	v_xor_b32_e32 v6, s12, v6
	v_and_b32_e32 v4, v4, v7
	v_lshlrev_b32_e32 v7, 24, v17
	v_and_b32_e32 v19, v19, v6
	v_mov_b32_e32 v6, v5
	v_not_b32_e32 v5, v7
	v_cmp_gt_i64_e64 s[12:13], 0, v[6:7]
	v_ashrrev_i32_e32 v5, 31, v5
	; wave barrier
	s_nop 0
	v_xor_b32_e32 v6, s13, v5
	v_xor_b32_e32 v7, s12, v5
	v_and_b32_e32 v5, v4, v6
	v_and_b32_e32 v4, v19, v7
	v_mbcnt_lo_u32_b32 v6, v4, 0
	v_mbcnt_hi_u32_b32 v17, v5, v6
	v_cmp_eq_u32_e64 s[12:13], 0, v17
	v_cmp_ne_u64_e64 s[14:15], 0, v[4:5]
	s_and_b64 s[14:15], s[14:15], s[12:13]
	s_and_saveexec_b64 s[12:13], s[14:15]
	s_cbranch_execz .LBB18_17
; %bb.16:
	v_bcnt_u32_b32 v4, v4, 0
	v_bcnt_u32_b32 v4, v5, v4
	s_waitcnt lgkmcnt(0)
	v_add_u32_e32 v4, v12, v4
	ds_write_b32 v16, v4 offset:64
.LBB18_17:
	s_or_b64 exec, exec, s[12:13]
	v_mov_b32_e32 v25, 0xffff8000
	v_cmp_lt_i16_e64 s[12:13], -1, v18
	s_movk_i32 s16, 0x7fff
	v_mov_b32_e32 v5, 0
	v_cndmask_b32_e64 v4, -1, v25, s[12:13]
	v_xor_b32_e32 v18, v4, v18
	v_cmp_ne_u16_e64 s[12:13], s16, v18
	; wave barrier
	s_nop 1
	v_cndmask_b32_e64 v4, v25, v18, s[12:13]
	v_lshrrev_b32_sdwa v4, s48, v4 dst_sel:DWORD dst_unused:UNUSED_PAD src0_sel:DWORD src1_sel:WORD_0
	v_and_b32_e32 v22, s33, v4
	v_mul_u32_u24_e32 v4, 17, v22
	v_add_lshl_u32 v21, v24, v4, 2
	v_and_b32_e32 v4, 1, v22
	v_lshl_add_u64 v[6:7], v[4:5], 0, -1
	v_cmp_ne_u32_e64 s[12:13], 0, v4
	ds_read_b32 v19, v21 offset:64
	s_nop 0
	v_xor_b32_e32 v6, s12, v6
	v_xor_b32_e32 v4, s13, v7
	v_and_b32_e32 v26, exec_lo, v6
	v_lshlrev_b32_e32 v7, 30, v22
	v_mov_b32_e32 v6, v5
	v_cmp_gt_i64_e64 s[12:13], 0, v[6:7]
	v_not_b32_e32 v6, v7
	v_ashrrev_i32_e32 v6, 31, v6
	v_and_b32_e32 v4, exec_hi, v4
	v_xor_b32_e32 v7, s13, v6
	v_xor_b32_e32 v6, s12, v6
	v_and_b32_e32 v4, v4, v7
	v_and_b32_e32 v26, v26, v6
	v_lshlrev_b32_e32 v7, 29, v22
	v_mov_b32_e32 v6, v5
	v_cmp_gt_i64_e64 s[12:13], 0, v[6:7]
	v_not_b32_e32 v6, v7
	v_ashrrev_i32_e32 v6, 31, v6
	v_xor_b32_e32 v7, s13, v6
	v_xor_b32_e32 v6, s12, v6
	v_and_b32_e32 v4, v4, v7
	v_and_b32_e32 v26, v26, v6
	v_lshlrev_b32_e32 v7, 28, v22
	v_mov_b32_e32 v6, v5
	v_cmp_gt_i64_e64 s[12:13], 0, v[6:7]
	v_not_b32_e32 v6, v7
	v_ashrrev_i32_e32 v6, 31, v6
	;; [unrolled: 9-line block ×6, first 2 shown]
	v_xor_b32_e32 v7, s13, v6
	v_xor_b32_e32 v6, s12, v6
	v_and_b32_e32 v6, v26, v6
	v_and_b32_e32 v7, v4, v7
	v_mbcnt_lo_u32_b32 v4, v6, 0
	v_mbcnt_hi_u32_b32 v22, v7, v4
	v_cmp_eq_u32_e64 s[12:13], 0, v22
	v_cmp_ne_u64_e64 s[14:15], 0, v[6:7]
	s_and_b64 s[14:15], s[14:15], s[12:13]
	; wave barrier
	s_and_saveexec_b64 s[12:13], s[14:15]
	s_cbranch_execz .LBB18_19
; %bb.18:
	v_bcnt_u32_b32 v4, v6, 0
	v_bcnt_u32_b32 v4, v7, v4
	s_waitcnt lgkmcnt(0)
	v_add_u32_e32 v4, v19, v4
	ds_write_b32 v21, v4 offset:64
.LBB18_19:
	s_or_b64 exec, exec, s[12:13]
	v_cmp_lt_i16_e64 s[12:13], -1, v23
	; wave barrier
	s_nop 1
	v_cndmask_b32_e64 v4, -1, v25, s[12:13]
	v_xor_b32_e32 v23, v4, v23
	v_cmp_ne_u16_e64 s[12:13], s16, v23
	s_nop 1
	v_cndmask_b32_e64 v4, v25, v23, s[12:13]
	v_lshrrev_b32_sdwa v4, s48, v4 dst_sel:DWORD dst_unused:UNUSED_PAD src0_sel:DWORD src1_sel:WORD_0
	v_and_b32_e32 v27, s33, v4
	v_mul_u32_u24_e32 v4, 17, v27
	v_add_lshl_u32 v26, v24, v4, 2
	v_and_b32_e32 v4, 1, v27
	v_lshl_add_u64 v[6:7], v[4:5], 0, -1
	v_cmp_ne_u32_e64 s[12:13], 0, v4
	ds_read_b32 v25, v26 offset:64
	s_nop 0
	v_xor_b32_e32 v6, s12, v6
	v_xor_b32_e32 v4, s13, v7
	v_and_b32_e32 v28, exec_lo, v6
	v_lshlrev_b32_e32 v7, 30, v27
	v_mov_b32_e32 v6, v5
	v_cmp_gt_i64_e64 s[12:13], 0, v[6:7]
	v_not_b32_e32 v6, v7
	v_ashrrev_i32_e32 v6, 31, v6
	v_and_b32_e32 v4, exec_hi, v4
	v_xor_b32_e32 v7, s13, v6
	v_xor_b32_e32 v6, s12, v6
	v_and_b32_e32 v4, v4, v7
	v_and_b32_e32 v28, v28, v6
	v_lshlrev_b32_e32 v7, 29, v27
	v_mov_b32_e32 v6, v5
	v_cmp_gt_i64_e64 s[12:13], 0, v[6:7]
	v_not_b32_e32 v6, v7
	v_ashrrev_i32_e32 v6, 31, v6
	v_xor_b32_e32 v7, s13, v6
	v_xor_b32_e32 v6, s12, v6
	v_and_b32_e32 v4, v4, v7
	v_and_b32_e32 v28, v28, v6
	v_lshlrev_b32_e32 v7, 28, v27
	v_mov_b32_e32 v6, v5
	v_cmp_gt_i64_e64 s[12:13], 0, v[6:7]
	v_not_b32_e32 v6, v7
	v_ashrrev_i32_e32 v6, 31, v6
	v_xor_b32_e32 v7, s13, v6
	v_xor_b32_e32 v6, s12, v6
	v_and_b32_e32 v4, v4, v7
	v_and_b32_e32 v28, v28, v6
	v_lshlrev_b32_e32 v7, 27, v27
	v_mov_b32_e32 v6, v5
	v_cmp_gt_i64_e64 s[12:13], 0, v[6:7]
	v_not_b32_e32 v6, v7
	v_ashrrev_i32_e32 v6, 31, v6
	v_xor_b32_e32 v7, s13, v6
	v_xor_b32_e32 v6, s12, v6
	v_and_b32_e32 v4, v4, v7
	v_and_b32_e32 v28, v28, v6
	v_lshlrev_b32_e32 v7, 26, v27
	v_mov_b32_e32 v6, v5
	v_cmp_gt_i64_e64 s[12:13], 0, v[6:7]
	v_not_b32_e32 v6, v7
	v_ashrrev_i32_e32 v6, 31, v6
	v_xor_b32_e32 v7, s13, v6
	v_xor_b32_e32 v6, s12, v6
	v_and_b32_e32 v4, v4, v7
	v_and_b32_e32 v28, v28, v6
	v_lshlrev_b32_e32 v7, 25, v27
	v_mov_b32_e32 v6, v5
	v_cmp_gt_i64_e64 s[12:13], 0, v[6:7]
	v_not_b32_e32 v6, v7
	v_ashrrev_i32_e32 v6, 31, v6
	v_xor_b32_e32 v7, s13, v6
	v_xor_b32_e32 v6, s12, v6
	v_and_b32_e32 v4, v4, v7
	v_lshlrev_b32_e32 v7, 24, v27
	v_and_b32_e32 v28, v28, v6
	v_mov_b32_e32 v6, v5
	v_not_b32_e32 v5, v7
	v_cmp_gt_i64_e64 s[12:13], 0, v[6:7]
	v_ashrrev_i32_e32 v5, 31, v5
	; wave barrier
	s_nop 0
	v_xor_b32_e32 v6, s13, v5
	v_xor_b32_e32 v7, s12, v5
	v_and_b32_e32 v5, v4, v6
	v_and_b32_e32 v4, v28, v7
	v_mbcnt_lo_u32_b32 v6, v4, 0
	v_mbcnt_hi_u32_b32 v29, v5, v6
	v_cmp_eq_u32_e64 s[12:13], 0, v29
	v_cmp_ne_u64_e64 s[14:15], 0, v[4:5]
	s_and_b64 s[14:15], s[14:15], s[12:13]
	s_and_saveexec_b64 s[12:13], s[14:15]
	s_cbranch_execz .LBB18_21
; %bb.20:
	v_bcnt_u32_b32 v4, v4, 0
	v_bcnt_u32_b32 v4, v5, v4
	s_waitcnt lgkmcnt(0)
	v_add_u32_e32 v4, v25, v4
	ds_write_b32 v26, v4 offset:64
.LBB18_21:
	s_or_b64 exec, exec, s[12:13]
	v_mov_b32_e32 v32, 0xffff8000
	v_cmp_lt_i16_e64 s[12:13], -1, v20
	v_mov_b32_e32 v5, 0
	s_nop 0
	v_cndmask_b32_e64 v4, -1, v32, s[12:13]
	v_xor_b32_e32 v20, v4, v20
	v_cmp_ne_u16_e64 s[12:13], s16, v20
	; wave barrier
	s_nop 1
	v_cndmask_b32_e64 v4, v32, v20, s[12:13]
	v_lshrrev_b32_sdwa v4, s48, v4 dst_sel:DWORD dst_unused:UNUSED_PAD src0_sel:DWORD src1_sel:WORD_0
	v_and_b32_e32 v28, s33, v4
	v_mul_u32_u24_e32 v4, 17, v28
	v_add_lshl_u32 v27, v24, v4, 2
	v_and_b32_e32 v4, 1, v28
	v_lshl_add_u64 v[6:7], v[4:5], 0, -1
	v_cmp_ne_u32_e64 s[12:13], 0, v4
	ds_read_b32 v30, v27 offset:64
	s_nop 0
	v_xor_b32_e32 v6, s12, v6
	v_xor_b32_e32 v4, s13, v7
	v_and_b32_e32 v31, exec_lo, v6
	v_lshlrev_b32_e32 v7, 30, v28
	v_mov_b32_e32 v6, v5
	v_cmp_gt_i64_e64 s[12:13], 0, v[6:7]
	v_not_b32_e32 v6, v7
	v_ashrrev_i32_e32 v6, 31, v6
	v_and_b32_e32 v4, exec_hi, v4
	v_xor_b32_e32 v7, s13, v6
	v_xor_b32_e32 v6, s12, v6
	v_and_b32_e32 v4, v4, v7
	v_and_b32_e32 v31, v31, v6
	v_lshlrev_b32_e32 v7, 29, v28
	v_mov_b32_e32 v6, v5
	v_cmp_gt_i64_e64 s[12:13], 0, v[6:7]
	v_not_b32_e32 v6, v7
	v_ashrrev_i32_e32 v6, 31, v6
	v_xor_b32_e32 v7, s13, v6
	v_xor_b32_e32 v6, s12, v6
	v_and_b32_e32 v4, v4, v7
	v_and_b32_e32 v31, v31, v6
	v_lshlrev_b32_e32 v7, 28, v28
	v_mov_b32_e32 v6, v5
	v_cmp_gt_i64_e64 s[12:13], 0, v[6:7]
	v_not_b32_e32 v6, v7
	v_ashrrev_i32_e32 v6, 31, v6
	;; [unrolled: 9-line block ×6, first 2 shown]
	v_xor_b32_e32 v7, s13, v6
	v_xor_b32_e32 v6, s12, v6
	v_and_b32_e32 v6, v31, v6
	v_and_b32_e32 v7, v4, v7
	v_mbcnt_lo_u32_b32 v4, v6, 0
	v_mbcnt_hi_u32_b32 v31, v7, v4
	v_cmp_eq_u32_e64 s[12:13], 0, v31
	v_cmp_ne_u64_e64 s[14:15], 0, v[6:7]
	s_and_b64 s[14:15], s[14:15], s[12:13]
	; wave barrier
	s_and_saveexec_b64 s[12:13], s[14:15]
	s_cbranch_execz .LBB18_23
; %bb.22:
	v_bcnt_u32_b32 v4, v6, 0
	v_bcnt_u32_b32 v4, v7, v4
	s_waitcnt lgkmcnt(0)
	v_add_u32_e32 v4, v30, v4
	ds_write_b32 v27, v4 offset:64
.LBB18_23:
	s_or_b64 exec, exec, s[12:13]
	v_cmp_lt_i16_e64 s[12:13], -1, v15
	; wave barrier
	s_nop 1
	v_cndmask_b32_e64 v4, -1, v32, s[12:13]
	v_xor_b32_e32 v15, v4, v15
	v_cmp_ne_u16_e64 s[12:13], s16, v15
	v_add_u32_e32 v28, 64, v8
	s_nop 0
	v_cndmask_b32_e64 v4, v32, v15, s[12:13]
	v_lshrrev_b32_sdwa v4, s48, v4 dst_sel:DWORD dst_unused:UNUSED_PAD src0_sel:DWORD src1_sel:WORD_0
	v_and_b32_e32 v33, s33, v4
	v_mul_u32_u24_e32 v4, 17, v33
	v_add_lshl_u32 v24, v4, v24, 2
	v_and_b32_e32 v4, 1, v33
	v_lshl_add_u64 v[6:7], v[4:5], 0, -1
	v_cmp_ne_u32_e64 s[12:13], 0, v4
	ds_read_b32 v32, v24 offset:64
	s_nop 0
	v_xor_b32_e32 v6, s12, v6
	v_xor_b32_e32 v4, s13, v7
	v_and_b32_e32 v34, exec_lo, v6
	v_lshlrev_b32_e32 v7, 30, v33
	v_mov_b32_e32 v6, v5
	v_cmp_gt_i64_e64 s[12:13], 0, v[6:7]
	v_not_b32_e32 v6, v7
	v_ashrrev_i32_e32 v6, 31, v6
	v_and_b32_e32 v4, exec_hi, v4
	v_xor_b32_e32 v7, s13, v6
	v_xor_b32_e32 v6, s12, v6
	v_and_b32_e32 v4, v4, v7
	v_and_b32_e32 v34, v34, v6
	v_lshlrev_b32_e32 v7, 29, v33
	v_mov_b32_e32 v6, v5
	v_cmp_gt_i64_e64 s[12:13], 0, v[6:7]
	v_not_b32_e32 v6, v7
	v_ashrrev_i32_e32 v6, 31, v6
	v_xor_b32_e32 v7, s13, v6
	v_xor_b32_e32 v6, s12, v6
	v_and_b32_e32 v4, v4, v7
	v_and_b32_e32 v34, v34, v6
	v_lshlrev_b32_e32 v7, 28, v33
	v_mov_b32_e32 v6, v5
	v_cmp_gt_i64_e64 s[12:13], 0, v[6:7]
	v_not_b32_e32 v6, v7
	v_ashrrev_i32_e32 v6, 31, v6
	;; [unrolled: 9-line block ×5, first 2 shown]
	v_xor_b32_e32 v7, s13, v6
	v_xor_b32_e32 v6, s12, v6
	v_and_b32_e32 v4, v4, v7
	v_lshlrev_b32_e32 v7, 24, v33
	v_and_b32_e32 v34, v34, v6
	v_mov_b32_e32 v6, v5
	v_not_b32_e32 v5, v7
	v_cmp_gt_i64_e64 s[12:13], 0, v[6:7]
	v_ashrrev_i32_e32 v5, 31, v5
	; wave barrier
	s_nop 0
	v_xor_b32_e32 v6, s13, v5
	v_xor_b32_e32 v7, s12, v5
	v_and_b32_e32 v5, v4, v6
	v_and_b32_e32 v4, v34, v7
	v_mbcnt_lo_u32_b32 v6, v4, 0
	v_mbcnt_hi_u32_b32 v33, v5, v6
	v_cmp_eq_u32_e64 s[12:13], 0, v33
	v_cmp_ne_u64_e64 s[14:15], 0, v[4:5]
	s_and_b64 s[14:15], s[14:15], s[12:13]
	s_and_saveexec_b64 s[12:13], s[14:15]
	s_cbranch_execz .LBB18_25
; %bb.24:
	v_bcnt_u32_b32 v4, v4, 0
	v_bcnt_u32_b32 v4, v5, v4
	s_waitcnt lgkmcnt(0)
	v_add_u32_e32 v4, v32, v4
	ds_write_b32 v24, v4 offset:64
.LBB18_25:
	s_or_b64 exec, exec, s[12:13]
	; wave barrier
	s_waitcnt lgkmcnt(0)
	s_barrier
	ds_read2_b32 v[6:7], v8 offset0:16 offset1:17
	ds_read2_b32 v[4:5], v28 offset0:2 offset1:3
	ds_read_b32 v34, v28 offset:16
	v_cmp_lt_u32_e64 s[20:21], 31, v14
	s_waitcnt lgkmcnt(1)
	v_add3_u32 v35, v7, v6, v4
	s_waitcnt lgkmcnt(0)
	v_add3_u32 v34, v35, v5, v34
	v_and_b32_e32 v35, 15, v14
	v_cmp_eq_u32_e64 s[12:13], 0, v35
	v_mov_b32_dpp v36, v34 row_shr:1 row_mask:0xf bank_mask:0xf
	v_cmp_lt_u32_e64 s[14:15], 1, v35
	v_cndmask_b32_e64 v36, v36, 0, s[12:13]
	v_add_u32_e32 v34, v36, v34
	v_cmp_lt_u32_e64 s[16:17], 3, v35
	v_cmp_lt_u32_e64 s[18:19], 7, v35
	v_mov_b32_dpp v36, v34 row_shr:2 row_mask:0xf bank_mask:0xf
	v_cndmask_b32_e64 v36, 0, v36, s[14:15]
	v_add_u32_e32 v34, v34, v36
	s_nop 1
	v_mov_b32_dpp v36, v34 row_shr:4 row_mask:0xf bank_mask:0xf
	v_cndmask_b32_e64 v36, 0, v36, s[16:17]
	v_add_u32_e32 v34, v34, v36
	s_nop 1
	v_mov_b32_dpp v36, v34 row_shr:8 row_mask:0xf bank_mask:0xf
	v_cndmask_b32_e64 v35, 0, v36, s[18:19]
	v_add_u32_e32 v34, v34, v35
	v_bfe_i32 v36, v14, 4, 1
	s_nop 0
	v_mov_b32_dpp v35, v34 row_bcast:15 row_mask:0xf bank_mask:0xf
	v_and_b32_e32 v35, v36, v35
	v_add_u32_e32 v34, v34, v35
	v_and_b32_e32 v36, 63, v2
	s_nop 0
	v_mov_b32_dpp v35, v34 row_bcast:31 row_mask:0xf bank_mask:0xf
	v_cndmask_b32_e64 v35, 0, v35, s[20:21]
	v_add_u32_e32 v34, v34, v35
	v_lshrrev_b32_e32 v35, 6, v2
	v_cmp_eq_u32_e64 s[20:21], 63, v36
	s_and_saveexec_b64 s[22:23], s[20:21]
	s_cbranch_execz .LBB18_27
; %bb.26:
	v_lshlrev_b32_e32 v36, 2, v35
	ds_write_b32 v36, v34
.LBB18_27:
	s_or_b64 exec, exec, s[22:23]
	v_cmp_gt_u32_e64 s[20:21], 16, v2
	s_waitcnt lgkmcnt(0)
	s_barrier
	s_and_saveexec_b64 s[22:23], s[20:21]
	s_cbranch_execz .LBB18_29
; %bb.28:
	v_lshlrev_b32_e32 v36, 2, v2
	ds_read_b32 v37, v36
	s_waitcnt lgkmcnt(0)
	s_nop 0
	v_mov_b32_dpp v38, v37 row_shr:1 row_mask:0xf bank_mask:0xf
	v_cndmask_b32_e64 v38, v38, 0, s[12:13]
	v_add_u32_e32 v37, v38, v37
	s_nop 1
	v_mov_b32_dpp v38, v37 row_shr:2 row_mask:0xf bank_mask:0xf
	v_cndmask_b32_e64 v38, 0, v38, s[14:15]
	v_add_u32_e32 v37, v37, v38
	;; [unrolled: 4-line block ×4, first 2 shown]
	ds_write_b32 v36, v37
.LBB18_29:
	s_or_b64 exec, exec, s[22:23]
	v_cmp_lt_u32_e64 s[12:13], 63, v2
	v_mov_b32_e32 v36, 0
	s_waitcnt lgkmcnt(0)
	s_barrier
	s_and_saveexec_b64 s[14:15], s[12:13]
	s_cbranch_execz .LBB18_31
; %bb.30:
	v_lshl_add_u32 v35, v35, 2, -4
	ds_read_b32 v36, v35
.LBB18_31:
	s_or_b64 exec, exec, s[14:15]
	v_add_u32_e32 v35, -1, v14
	v_and_b32_e32 v37, 64, v14
	v_cmp_lt_i32_e64 s[12:13], v35, v37
	s_waitcnt lgkmcnt(0)
	v_add_u32_e32 v34, v36, v34
	v_cndmask_b32_e64 v35, v35, v14, s[12:13]
	v_lshlrev_b32_e32 v35, 2, v35
	ds_bpermute_b32 v34, v35, v34
	v_cmp_eq_u32_e64 s[12:13], 0, v14
	s_waitcnt lgkmcnt(0)
	s_nop 0
	v_cndmask_b32_e64 v34, v34, v36, s[12:13]
	v_cmp_ne_u32_e64 s[12:13], 0, v2
	s_nop 1
	v_cndmask_b32_e64 v34, 0, v34, s[12:13]
	v_add_u32_e32 v6, v34, v6
	v_add_u32_e32 v7, v6, v7
	;; [unrolled: 1-line block ×4, first 2 shown]
	ds_write2_b32 v8, v34, v6 offset0:16 offset1:17
	ds_write2_b32 v28, v7, v4 offset0:2 offset1:3
	ds_write_b32 v28, v5 offset:16
	s_waitcnt lgkmcnt(0)
	s_barrier
	ds_read_b32 v7, v13 offset:64
	ds_read_b32 v8, v16 offset:64
	;; [unrolled: 1-line block ×6, first 2 shown]
	s_movk_i32 s12, 0x100
	v_cmp_gt_u32_e64 s[12:13], s12, v2
	v_mov_b64_e32 v[4:5], 0
                                        ; implicit-def: $vgpr6
	s_and_saveexec_b64 s[16:17], s[12:13]
	s_cbranch_execz .LBB18_35
; %bb.32:
	v_mul_u32_u24_e32 v4, 17, v2
	v_lshlrev_b32_e32 v6, 2, v4
	ds_read_b32 v4, v6 offset:64
	s_movk_i32 s14, 0xff
	v_cmp_ne_u32_e64 s[14:15], s14, v2
	v_mov_b32_e32 v5, 0x1800
	s_and_saveexec_b64 s[18:19], s[14:15]
	s_cbranch_execz .LBB18_34
; %bb.33:
	ds_read_b32 v5, v6 offset:132
.LBB18_34:
	s_or_b64 exec, exec, s[18:19]
	s_waitcnt lgkmcnt(0)
	v_sub_u32_e32 v6, v5, v4
	v_mov_b32_e32 v5, 0
.LBB18_35:
	s_or_b64 exec, exec, s[16:17]
	s_waitcnt lgkmcnt(5)
	v_add_u32_e32 v28, v7, v10
	s_waitcnt lgkmcnt(4)
	v_add3_u32 v27, v17, v12, v8
	v_lshlrev_b32_e32 v8, 1, v28
	s_waitcnt lgkmcnt(3)
	v_add3_u32 v26, v22, v19, v13
	s_waitcnt lgkmcnt(0)
	s_barrier
	ds_write_b16 v8, v9 offset:2048
	v_lshlrev_b32_e32 v8, 1, v27
	v_add3_u32 v25, v29, v25, v16
	ds_write_b16 v8, v11 offset:2048
	v_lshlrev_b32_e32 v8, 1, v26
	v_add3_u32 v24, v31, v30, v21
	;; [unrolled: 3-line block ×3, first 2 shown]
	ds_write_b16 v8, v23 offset:2048
	v_lshlrev_b32_e32 v8, 1, v24
	ds_write_b16 v8, v20 offset:2048
	v_lshlrev_b32_e32 v8, 1, v7
	ds_write_b16 v8, v15 offset:2048
	s_waitcnt lgkmcnt(0)
	s_barrier
	s_and_saveexec_b64 s[16:17], s[12:13]
	s_cbranch_execz .LBB18_45
; %bb.36:
	v_lshl_or_b32 v10, s2, 8, v2
	v_mov_b32_e32 v11, 0
	v_lshl_add_u64 v[8:9], v[10:11], 2, s[34:35]
	v_or_b32_e32 v10, 2.0, v6
	s_mov_b64 s[18:19], 0
	s_brev_b32 s24, 1
	s_mov_b32 s25, s2
	v_mov_b32_e32 v15, 0
	global_store_dword v[8:9], v10, off sc1
                                        ; implicit-def: $sgpr14_sgpr15
	s_branch .LBB18_38
.LBB18_37:                              ;   in Loop: Header=BB18_38 Depth=1
	s_or_b64 exec, exec, s[20:21]
	v_and_b32_e32 v12, 0x3fffffff, v16
	v_add_u32_e32 v15, v12, v15
	v_cmp_eq_u32_e64 s[14:15], s24, v10
	s_and_b64 s[20:21], exec, s[14:15]
	s_or_b64 s[18:19], s[20:21], s[18:19]
	s_andn2_b64 exec, exec, s[18:19]
	s_cbranch_execz .LBB18_44
.LBB18_38:                              ; =>This Loop Header: Depth=1
                                        ;     Child Loop BB18_41 Depth 2
	s_or_b64 s[14:15], s[14:15], exec
	s_cmp_eq_u32 s25, 0
	s_cbranch_scc1 .LBB18_43
; %bb.39:                               ;   in Loop: Header=BB18_38 Depth=1
	s_add_i32 s25, s25, -1
	v_lshl_or_b32 v10, s25, 8, v2
	v_lshl_add_u64 v[12:13], v[10:11], 2, s[34:35]
	global_load_dword v16, v[12:13], off sc1
	s_waitcnt vmcnt(0)
	v_and_b32_e32 v10, -2.0, v16
	v_cmp_eq_u32_e64 s[14:15], 0, v10
	s_and_saveexec_b64 s[20:21], s[14:15]
	s_cbranch_execz .LBB18_37
; %bb.40:                               ;   in Loop: Header=BB18_38 Depth=1
	s_mov_b64 s[22:23], 0
.LBB18_41:                              ;   Parent Loop BB18_38 Depth=1
                                        ; =>  This Inner Loop Header: Depth=2
	global_load_dword v16, v[12:13], off sc1
	s_waitcnt vmcnt(0)
	v_and_b32_e32 v10, -2.0, v16
	v_cmp_ne_u32_e64 s[14:15], 0, v10
	s_or_b64 s[22:23], s[14:15], s[22:23]
	s_andn2_b64 exec, exec, s[22:23]
	s_cbranch_execnz .LBB18_41
; %bb.42:                               ;   in Loop: Header=BB18_38 Depth=1
	s_or_b64 exec, exec, s[22:23]
	s_branch .LBB18_37
.LBB18_43:                              ;   in Loop: Header=BB18_38 Depth=1
                                        ; implicit-def: $sgpr25
	s_and_b64 s[20:21], exec, s[14:15]
	s_or_b64 s[18:19], s[20:21], s[18:19]
	s_andn2_b64 exec, exec, s[18:19]
	s_cbranch_execnz .LBB18_38
.LBB18_44:
	s_or_b64 exec, exec, s[18:19]
	v_add_u32_e32 v10, v15, v6
	v_or_b32_e32 v10, 0x80000000, v10
	global_store_dword v[8:9], v10, off sc1
	v_lshlrev_b32_e32 v12, 3, v2
	global_load_dwordx2 v[8:9], v12, s[44:45]
	v_sub_co_u32_e64 v10, s[14:15], v15, v4
	s_nop 1
	v_subb_co_u32_e64 v11, s[14:15], 0, v5, s[14:15]
	s_waitcnt vmcnt(0)
	v_lshl_add_u64 v[8:9], v[10:11], 0, v[8:9]
	ds_write_b64 v12, v[8:9]
.LBB18_45:
	s_or_b64 exec, exec, s[16:17]
	v_cmp_gt_u32_e64 s[14:15], s50, v2
	v_lshlrev_b32_e32 v8, 1, v2
	s_waitcnt lgkmcnt(0)
	s_barrier
	s_and_saveexec_b64 s[18:19], s[14:15]
	s_cbranch_execz .LBB18_47
; %bb.46:
	ds_read_u16 v9, v8 offset:2048
	s_movk_i32 s16, 0x7fff
	v_mov_b32_e32 v12, 0xffff8000
	s_waitcnt lgkmcnt(0)
	v_cmp_ne_u16_e64 s[16:17], s16, v9
	s_nop 1
	v_cndmask_b32_e64 v10, v12, v9, s[16:17]
	v_lshrrev_b32_sdwa v10, s48, v10 dst_sel:DWORD dst_unused:UNUSED_PAD src0_sel:DWORD src1_sel:WORD_0
	v_and_b32_e32 v10, s33, v10
	v_lshlrev_b32_e32 v10, 3, v10
	ds_read_b64 v[10:11], v10
	v_cmp_lt_i16_e64 s[16:17], -1, v9
	s_waitcnt lgkmcnt(0)
	v_lshl_add_u64 v[10:11], v[10:11], 1, s[38:39]
	v_cndmask_b32_e64 v12, v12, -1, s[16:17]
	v_xor_b32_e32 v12, v12, v9
	v_mov_b32_e32 v9, 0
	v_lshl_add_u64 v[10:11], v[10:11], 0, v[8:9]
	global_store_short v[10:11], v12, off
.LBB18_47:
	s_or_b64 exec, exec, s[18:19]
	v_or_b32_e32 v29, 0x400, v2
	v_cmp_gt_u32_e64 s[16:17], s50, v29
	s_and_saveexec_b64 s[20:21], s[16:17]
	s_cbranch_execz .LBB18_49
; %bb.48:
	ds_read_u16 v9, v8 offset:4096
	s_movk_i32 s18, 0x7fff
	v_mov_b32_e32 v12, 0xffff8000
	s_waitcnt lgkmcnt(0)
	v_cmp_ne_u16_e64 s[18:19], s18, v9
	s_nop 1
	v_cndmask_b32_e64 v10, v12, v9, s[18:19]
	v_lshrrev_b32_sdwa v10, s48, v10 dst_sel:DWORD dst_unused:UNUSED_PAD src0_sel:DWORD src1_sel:WORD_0
	v_and_b32_e32 v10, s33, v10
	v_lshlrev_b32_e32 v10, 3, v10
	ds_read_b64 v[10:11], v10
	v_cmp_lt_i16_e64 s[18:19], -1, v9
	s_waitcnt lgkmcnt(0)
	v_lshl_add_u64 v[10:11], v[10:11], 1, s[38:39]
	v_cndmask_b32_e64 v12, v12, -1, s[18:19]
	v_xor_b32_e32 v12, v12, v9
	v_mov_b32_e32 v9, 0
	v_lshl_add_u64 v[10:11], v[10:11], 0, v[8:9]
	global_store_short v[10:11], v12, off offset:2048
.LBB18_49:
	s_or_b64 exec, exec, s[20:21]
	v_or_b32_e32 v30, 0x800, v2
	v_cmp_gt_u32_e64 s[18:19], s50, v30
	s_and_saveexec_b64 s[22:23], s[18:19]
	s_cbranch_execz .LBB18_51
; %bb.50:
	ds_read_u16 v9, v8 offset:6144
	s_movk_i32 s20, 0x7fff
	v_mov_b32_e32 v13, 0xffff8000
	v_lshlrev_b32_e32 v12, 1, v30
	s_waitcnt lgkmcnt(0)
	v_cmp_ne_u16_e64 s[20:21], s20, v9
	s_nop 1
	v_cndmask_b32_e64 v10, v13, v9, s[20:21]
	v_lshrrev_b32_sdwa v10, s48, v10 dst_sel:DWORD dst_unused:UNUSED_PAD src0_sel:DWORD src1_sel:WORD_0
	v_and_b32_e32 v10, s33, v10
	v_lshlrev_b32_e32 v10, 3, v10
	ds_read_b64 v[10:11], v10
	v_cmp_lt_i16_e64 s[20:21], -1, v9
	s_waitcnt lgkmcnt(0)
	v_lshl_add_u64 v[10:11], v[10:11], 1, s[38:39]
	v_cndmask_b32_e64 v13, v13, -1, s[20:21]
	v_xor_b32_e32 v9, v13, v9
	v_mov_b32_e32 v13, 0
	v_lshl_add_u64 v[10:11], v[10:11], 0, v[12:13]
	global_store_short v[10:11], v9, off
.LBB18_51:
	s_or_b64 exec, exec, s[22:23]
	v_or_b32_e32 v31, 0xc00, v2
	v_cmp_gt_u32_e64 s[20:21], s50, v31
	s_and_saveexec_b64 s[24:25], s[20:21]
	s_cbranch_execz .LBB18_53
; %bb.52:
	ds_read_u16 v9, v8 offset:8192
	s_movk_i32 s22, 0x7fff
	v_mov_b32_e32 v13, 0xffff8000
	v_lshlrev_b32_e32 v12, 1, v31
	s_waitcnt lgkmcnt(0)
	v_cmp_ne_u16_e64 s[22:23], s22, v9
	s_nop 1
	v_cndmask_b32_e64 v10, v13, v9, s[22:23]
	v_lshrrev_b32_sdwa v10, s48, v10 dst_sel:DWORD dst_unused:UNUSED_PAD src0_sel:DWORD src1_sel:WORD_0
	v_and_b32_e32 v10, s33, v10
	v_lshlrev_b32_e32 v10, 3, v10
	ds_read_b64 v[10:11], v10
	v_cmp_lt_i16_e64 s[22:23], -1, v9
	s_waitcnt lgkmcnt(0)
	v_lshl_add_u64 v[10:11], v[10:11], 1, s[38:39]
	v_cndmask_b32_e64 v13, v13, -1, s[22:23]
	v_xor_b32_e32 v9, v13, v9
	v_mov_b32_e32 v13, 0
	v_lshl_add_u64 v[10:11], v[10:11], 0, v[12:13]
	global_store_short v[10:11], v9, off
.LBB18_53:
	;; [unrolled: 27-line block ×4, first 2 shown]
	s_or_b64 exec, exec, s[50:51]
	s_lshl_b64 s[28:29], s[30:31], 3
	s_add_u32 s28, s40, s28
	s_addc_u32 s29, s41, s29
	v_lshlrev_b32_e32 v10, 3, v14
	v_mov_b32_e32 v11, 0
	v_lshl_add_u64 v[12:13], s[28:29], 0, v[10:11]
	v_lshlrev_b32_e32 v10, 3, v3
	v_lshl_add_u64 v[22:23], v[12:13], 0, v[10:11]
                                        ; implicit-def: $vgpr10_vgpr11
	s_and_saveexec_b64 s[28:29], vcc
	s_xor_b64 s[28:29], exec, s[28:29]
	s_cbranch_execnz .LBB18_127
; %bb.58:
	s_or_b64 exec, exec, s[28:29]
                                        ; implicit-def: $vgpr12_vgpr13
	s_and_saveexec_b64 s[28:29], s[26:27]
	s_cbranch_execnz .LBB18_128
.LBB18_59:
	s_or_b64 exec, exec, s[28:29]
                                        ; implicit-def: $vgpr14_vgpr15
	s_and_saveexec_b64 s[26:27], s[4:5]
	s_cbranch_execnz .LBB18_129
.LBB18_60:
	s_or_b64 exec, exec, s[26:27]
                                        ; implicit-def: $vgpr16_vgpr17
	s_and_saveexec_b64 s[4:5], s[6:7]
	s_cbranch_execnz .LBB18_130
.LBB18_61:
	s_or_b64 exec, exec, s[4:5]
                                        ; implicit-def: $vgpr18_vgpr19
	s_and_saveexec_b64 s[4:5], s[8:9]
	s_cbranch_execnz .LBB18_131
.LBB18_62:
	s_or_b64 exec, exec, s[4:5]
                                        ; implicit-def: $vgpr20_vgpr21
	s_and_saveexec_b64 s[4:5], s[10:11]
	s_cbranch_execz .LBB18_64
.LBB18_63:
	global_load_dwordx2 v[20:21], v[22:23], off offset:2560
.LBB18_64:
	s_or_b64 exec, exec, s[4:5]
	v_mov_b32_e32 v23, 0
	v_mov_b32_e32 v9, 0
	s_and_saveexec_b64 s[4:5], s[14:15]
	s_cbranch_execz .LBB18_66
; %bb.65:
	ds_read_u16 v3, v8 offset:2048
	s_movk_i32 s6, 0x7fff
	v_mov_b32_e32 v9, 0xffff8000
	s_waitcnt lgkmcnt(0)
	v_cmp_ne_u16_e32 vcc, s6, v3
	s_nop 1
	v_cndmask_b32_e32 v3, v9, v3, vcc
	v_lshrrev_b32_sdwa v3, s48, v3 dst_sel:DWORD dst_unused:UNUSED_PAD src0_sel:DWORD src1_sel:WORD_0
	v_and_b32_e32 v9, s33, v3
.LBB18_66:
	s_or_b64 exec, exec, s[4:5]
	s_and_saveexec_b64 s[4:5], s[16:17]
	s_cbranch_execz .LBB18_68
; %bb.67:
	ds_read_u16 v3, v8 offset:4096
	s_movk_i32 s6, 0x7fff
	v_mov_b32_e32 v22, 0xffff8000
	s_waitcnt lgkmcnt(0)
	v_cmp_ne_u16_e32 vcc, s6, v3
	s_nop 1
	v_cndmask_b32_e32 v3, v22, v3, vcc
	v_lshrrev_b32_sdwa v3, s48, v3 dst_sel:DWORD dst_unused:UNUSED_PAD src0_sel:DWORD src1_sel:WORD_0
	v_and_b32_e32 v23, s33, v3
.LBB18_68:
	s_or_b64 exec, exec, s[4:5]
	v_mov_b32_e32 v22, 0
	v_mov_b32_e32 v35, 0
	s_and_saveexec_b64 s[4:5], s[18:19]
	s_cbranch_execz .LBB18_70
; %bb.69:
	ds_read_u16 v3, v8 offset:6144
	s_movk_i32 s6, 0x7fff
	v_mov_b32_e32 v34, 0xffff8000
	s_waitcnt lgkmcnt(0)
	v_cmp_ne_u16_e32 vcc, s6, v3
	s_nop 1
	v_cndmask_b32_e32 v3, v34, v3, vcc
	v_lshrrev_b32_sdwa v3, s48, v3 dst_sel:DWORD dst_unused:UNUSED_PAD src0_sel:DWORD src1_sel:WORD_0
	v_and_b32_e32 v35, s33, v3
.LBB18_70:
	s_or_b64 exec, exec, s[4:5]
	s_and_saveexec_b64 s[4:5], s[20:21]
	s_cbranch_execz .LBB18_72
; %bb.71:
	ds_read_u16 v3, v8 offset:8192
	s_movk_i32 s6, 0x7fff
	v_mov_b32_e32 v22, 0xffff8000
	s_waitcnt lgkmcnt(0)
	v_cmp_ne_u16_e32 vcc, s6, v3
	s_nop 1
	v_cndmask_b32_e32 v3, v22, v3, vcc
	v_lshrrev_b32_sdwa v3, s48, v3 dst_sel:DWORD dst_unused:UNUSED_PAD src0_sel:DWORD src1_sel:WORD_0
	v_and_b32_e32 v22, s33, v3
.LBB18_72:
	;; [unrolled: 30-line block ×3, first 2 shown]
	s_or_b64 exec, exec, s[4:5]
	v_lshlrev_b32_e32 v8, 3, v28
	s_barrier
	s_waitcnt vmcnt(0)
	ds_write_b64 v8, v[10:11] offset:2048
	v_lshlrev_b32_e32 v8, 3, v27
	ds_write_b64 v8, v[12:13] offset:2048
	v_lshlrev_b32_e32 v8, 3, v26
	;; [unrolled: 2-line block ×5, first 2 shown]
	v_lshlrev_b32_e32 v8, 3, v2
	ds_write_b64 v7, v[20:21] offset:2048
	s_waitcnt lgkmcnt(0)
	s_barrier
	s_and_saveexec_b64 s[4:5], s[14:15]
	s_cbranch_execnz .LBB18_132
; %bb.77:
	s_or_b64 exec, exec, s[4:5]
	s_and_saveexec_b64 s[4:5], s[16:17]
	s_cbranch_execnz .LBB18_133
.LBB18_78:
	s_or_b64 exec, exec, s[4:5]
	s_and_saveexec_b64 s[4:5], s[18:19]
	s_cbranch_execnz .LBB18_134
.LBB18_79:
	s_or_b64 exec, exec, s[4:5]
	s_and_saveexec_b64 s[4:5], s[20:21]
	s_cbranch_execnz .LBB18_135
.LBB18_80:
	s_or_b64 exec, exec, s[4:5]
	s_and_saveexec_b64 s[4:5], s[22:23]
	s_cbranch_execnz .LBB18_136
.LBB18_81:
	s_or_b64 exec, exec, s[4:5]
	s_and_saveexec_b64 s[4:5], s[24:25]
	s_cbranch_execz .LBB18_83
.LBB18_82:
	v_lshlrev_b32_e32 v3, 3, v3
	ds_read_b64 v[10:11], v3
	ds_read_b64 v[8:9], v8 offset:43008
	v_lshlrev_b32_e32 v12, 3, v33
	v_mov_b32_e32 v13, 0
	s_waitcnt lgkmcnt(1)
	v_lshl_add_u64 v[10:11], v[10:11], 3, s[42:43]
	v_lshl_add_u64 v[10:11], v[10:11], 0, v[12:13]
	s_waitcnt lgkmcnt(0)
	global_store_dwordx2 v[10:11], v[8:9], off
.LBB18_83:
	s_or_b64 exec, exec, s[4:5]
	s_add_i32 s3, s3, -1
	s_cmp_eq_u32 s2, s3
	s_cselect_b64 s[4:5], -1, 0
	s_and_b64 s[6:7], s[12:13], s[4:5]
	s_mov_b64 s[4:5], 0
	s_mov_b64 s[10:11], 0
                                        ; implicit-def: $vgpr8_vgpr9
	s_and_saveexec_b64 s[8:9], s[6:7]
	s_xor_b64 s[6:7], exec, s[8:9]
; %bb.84:
	v_mov_b32_e32 v7, 0
	s_mov_b64 s[10:11], exec
	v_lshl_add_u64 v[8:9], v[4:5], 0, v[6:7]
	v_mov_b32_e32 v3, v7
; %bb.85:
	s_or_b64 exec, exec, s[6:7]
	s_and_b64 vcc, exec, s[4:5]
	s_cbranch_vccnz .LBB18_87
	s_branch .LBB18_124
.LBB18_86:
	s_mov_b64 s[10:11], 0
                                        ; implicit-def: $vgpr8_vgpr9
                                        ; implicit-def: $vgpr2_vgpr3
	s_cbranch_execz .LBB18_124
.LBB18_87:
	s_mov_b32 s31, 0
	s_lshl_b64 s[4:5], s[30:31], 1
	v_and_b32_e32 v2, 0x3ff, v0
	s_add_u32 s4, s36, s4
	v_mbcnt_hi_u32_b32 v13, -1, v1
	s_addc_u32 s5, s37, s5
	v_mov_b32_e32 v5, 0
	v_and_b32_e32 v1, 0x3c0, v2
	v_lshlrev_b32_e32 v4, 1, v13
	v_mul_u32_u24_e32 v12, 6, v1
	v_lshl_add_u64 v[6:7], s[4:5], 0, v[4:5]
	s_load_dword s3, s[0:1], 0x50
	s_load_dword s4, s[0:1], 0x5c
	v_lshlrev_b32_e32 v4, 1, v12
	v_lshl_add_u64 v[18:19], v[6:7], 0, v[4:5]
	global_load_ushort v1, v[18:19], off
	s_add_u32 s0, s0, 0x50
	s_addc_u32 s1, s1, 0
	s_waitcnt lgkmcnt(0)
	s_lshr_b32 s4, s4, 16
	s_cmp_lt_u32 s2, s3
	s_cselect_b32 s5, 12, 18
	s_add_u32 s0, s0, s5
	s_addc_u32 s1, s1, 0
	global_load_ushort v4, v5, s[0:1]
	v_mul_u32_u24_e32 v6, 5, v2
	v_lshlrev_b32_e32 v6, 2, v6
	ds_write2_b32 v6, v5, v5 offset0:16 offset1:17
	ds_write2_b32 v6, v5, v5 offset0:18 offset1:19
	ds_write_b32 v6, v5 offset:80
	global_load_ushort v9, v[18:19], off offset:128
	global_load_ushort v15, v[18:19], off offset:256
	;; [unrolled: 1-line block ×5, first 2 shown]
	v_mov_b32_e32 v10, 0xffff8000
	v_bfe_u32 v3, v0, 10, 10
	v_bfe_u32 v7, v0, 20, 10
	v_mad_u32_u24 v7, v7, s4, v3
	s_movk_i32 s12, 0x7fff
	s_lshl_b32 s0, -1, s49
	s_not_b32 s14, s0
	v_mov_b32_e32 v0, v5
	v_mov_b32_e32 v24, v5
	;; [unrolled: 1-line block ×4, first 2 shown]
	s_waitcnt lgkmcnt(0)
	s_barrier
	s_waitcnt lgkmcnt(0)
	; wave barrier
	s_waitcnt vmcnt(6)
	v_cmp_lt_i16_e32 vcc, -1, v1
	s_nop 1
	v_cndmask_b32_e32 v3, -1, v10, vcc
	v_xor_b32_e32 v3, v3, v1
	v_cmp_ne_u16_e32 vcc, s12, v3
	s_waitcnt vmcnt(5)
	v_mad_u64_u32 v[18:19], s[0:1], v7, v4, v[2:3]
	v_cndmask_b32_e32 v1, v10, v3, vcc
	v_lshrrev_b32_sdwa v1, s48, v1 dst_sel:DWORD dst_unused:UNUSED_PAD src0_sel:DWORD src1_sel:WORD_0
	v_and_b32_e32 v8, s14, v1
	v_and_b32_e32 v4, 1, v8
	v_lshlrev_b32_e32 v1, 30, v8
	v_lshlrev_b32_e32 v25, 29, v8
	v_lshl_add_u64 v[30:31], v[4:5], 0, -1
	v_cmp_ne_u32_e32 vcc, 0, v4
	v_cmp_gt_i64_e64 s[0:1], 0, v[0:1]
	v_not_b32_e32 v0, v1
	v_lshlrev_b32_e32 v27, 28, v8
	v_not_b32_e32 v1, v25
	v_xor_b32_e32 v14, vcc_hi, v31
	v_xor_b32_e32 v16, vcc_lo, v30
	v_ashrrev_i32_e32 v0, 31, v0
	v_lshlrev_b32_e32 v29, 27, v8
	v_cmp_gt_i64_e64 s[4:5], 0, v[24:25]
	v_not_b32_e32 v4, v27
	v_ashrrev_i32_e32 v1, 31, v1
	v_and_b32_e32 v14, exec_hi, v14
	v_and_b32_e32 v16, exec_lo, v16
	v_xor_b32_e32 v19, s1, v0
	v_xor_b32_e32 v0, s0, v0
	v_cmp_gt_i64_e64 s[6:7], 0, v[26:27]
	v_not_b32_e32 v11, v29
	v_ashrrev_i32_e32 v4, 31, v4
	v_xor_b32_e32 v20, s5, v1
	v_xor_b32_e32 v1, s4, v1
	v_and_b32_e32 v14, v14, v19
	v_and_b32_e32 v0, v16, v0
	v_cmp_gt_i64_e64 s[8:9], 0, v[28:29]
	v_ashrrev_i32_e32 v11, 31, v11
	v_xor_b32_e32 v22, s7, v4
	v_xor_b32_e32 v4, s6, v4
	v_and_b32_e32 v14, v14, v20
	v_and_b32_e32 v0, v0, v1
	v_xor_b32_e32 v24, s9, v11
	v_xor_b32_e32 v11, s8, v11
	v_and_b32_e32 v1, v14, v22
	v_and_b32_e32 v0, v0, v4
	;; [unrolled: 1-line block ×4, first 2 shown]
	v_lshlrev_b32_e32 v1, 26, v8
	v_mov_b32_e32 v0, v5
	v_cmp_gt_i64_e32 vcc, 0, v[0:1]
	v_not_b32_e32 v0, v1
	v_ashrrev_i32_e32 v0, 31, v0
	v_xor_b32_e32 v1, vcc_hi, v0
	v_xor_b32_e32 v0, vcc_lo, v0
	v_and_b32_e32 v4, v4, v1
	v_and_b32_e32 v11, v11, v0
	v_lshlrev_b32_e32 v1, 25, v8
	v_mov_b32_e32 v0, v5
	v_cmp_gt_i64_e32 vcc, 0, v[0:1]
	v_not_b32_e32 v0, v1
	v_ashrrev_i32_e32 v0, 31, v0
	v_xor_b32_e32 v1, vcc_hi, v0
	v_xor_b32_e32 v0, vcc_lo, v0
	v_and_b32_e32 v4, v4, v1
	v_and_b32_e32 v11, v11, v0
	;; [unrolled: 9-line block ×3, first 2 shown]
	v_mbcnt_lo_u32_b32 v4, v0, 0
	v_mul_u32_u24_e32 v7, 17, v8
	v_mbcnt_hi_u32_b32 v8, v1, v4
	v_lshrrev_b32_e32 v18, 6, v18
	v_cmp_eq_u32_e32 vcc, 0, v8
	v_cmp_ne_u64_e64 s[0:1], 0, v[0:1]
	v_add_lshl_u32 v7, v18, v7, 2
	s_and_b64 s[4:5], s[0:1], vcc
	s_and_saveexec_b64 s[0:1], s[4:5]
	s_cbranch_execz .LBB18_89
; %bb.88:
	v_bcnt_u32_b32 v0, v0, 0
	v_bcnt_u32_b32 v0, v1, v0
	ds_write_b32 v7, v0 offset:64
.LBB18_89:
	s_or_b64 exec, exec, s[0:1]
	s_waitcnt vmcnt(4)
	v_cmp_lt_i16_e32 vcc, -1, v9
	; wave barrier
	s_nop 1
	v_cndmask_b32_e32 v0, -1, v10, vcc
	v_xor_b32_e32 v9, v0, v9
	v_cmp_ne_u16_e32 vcc, s12, v9
	s_nop 1
	v_cndmask_b32_e32 v0, v10, v9, vcc
	v_lshrrev_b32_sdwa v0, s48, v0 dst_sel:DWORD dst_unused:UNUSED_PAD src0_sel:DWORD src1_sel:WORD_0
	v_and_b32_e32 v14, s14, v0
	v_mul_u32_u24_e32 v0, 17, v14
	v_and_b32_e32 v4, 1, v14
	v_add_lshl_u32 v11, v18, v0, 2
	v_lshl_add_u64 v[0:1], v[4:5], 0, -1
	v_cmp_ne_u32_e32 vcc, 0, v4
	ds_read_b32 v10, v11 offset:64
	s_nop 0
	v_xor_b32_e32 v1, vcc_hi, v1
	v_xor_b32_e32 v0, vcc_lo, v0
	v_and_b32_e32 v4, exec_hi, v1
	v_and_b32_e32 v16, exec_lo, v0
	v_lshlrev_b32_e32 v1, 30, v14
	v_mov_b32_e32 v0, v5
	v_cmp_gt_i64_e32 vcc, 0, v[0:1]
	v_not_b32_e32 v0, v1
	v_ashrrev_i32_e32 v0, 31, v0
	v_xor_b32_e32 v1, vcc_hi, v0
	v_xor_b32_e32 v0, vcc_lo, v0
	v_and_b32_e32 v4, v4, v1
	v_and_b32_e32 v16, v16, v0
	v_lshlrev_b32_e32 v1, 29, v14
	v_mov_b32_e32 v0, v5
	v_cmp_gt_i64_e32 vcc, 0, v[0:1]
	v_not_b32_e32 v0, v1
	v_ashrrev_i32_e32 v0, 31, v0
	v_xor_b32_e32 v1, vcc_hi, v0
	v_xor_b32_e32 v0, vcc_lo, v0
	v_and_b32_e32 v4, v4, v1
	v_and_b32_e32 v16, v16, v0
	;; [unrolled: 9-line block ×7, first 2 shown]
	v_mbcnt_lo_u32_b32 v4, v0, 0
	v_mbcnt_hi_u32_b32 v14, v1, v4
	v_cmp_eq_u32_e32 vcc, 0, v14
	v_cmp_ne_u64_e64 s[0:1], 0, v[0:1]
	s_and_b64 s[4:5], s[0:1], vcc
	; wave barrier
	s_and_saveexec_b64 s[0:1], s[4:5]
	s_cbranch_execz .LBB18_91
; %bb.90:
	v_bcnt_u32_b32 v0, v0, 0
	v_bcnt_u32_b32 v0, v1, v0
	s_waitcnt lgkmcnt(0)
	v_add_u32_e32 v0, v10, v0
	ds_write_b32 v11, v0 offset:64
.LBB18_91:
	s_or_b64 exec, exec, s[0:1]
	v_mov_b32_e32 v22, 0xffff8000
	s_waitcnt vmcnt(3)
	v_cmp_lt_i16_e32 vcc, -1, v15
	s_movk_i32 s4, 0x7fff
	v_mov_b32_e32 v1, 0
	v_cndmask_b32_e32 v0, -1, v22, vcc
	v_xor_b32_e32 v15, v0, v15
	v_cmp_ne_u16_e32 vcc, s4, v15
	; wave barrier
	s_nop 1
	v_cndmask_b32_e32 v0, v22, v15, vcc
	v_lshrrev_b32_sdwa v0, s48, v0 dst_sel:DWORD dst_unused:UNUSED_PAD src0_sel:DWORD src1_sel:WORD_0
	v_and_b32_e32 v20, s14, v0
	v_mul_u32_u24_e32 v0, 17, v20
	v_add_lshl_u32 v19, v18, v0, 2
	v_and_b32_e32 v0, 1, v20
	v_lshl_add_u64 v[4:5], v[0:1], 0, -1
	v_cmp_ne_u32_e32 vcc, 0, v0
	ds_read_b32 v16, v19 offset:64
	s_nop 0
	v_xor_b32_e32 v4, vcc_lo, v4
	v_xor_b32_e32 v0, vcc_hi, v5
	v_and_b32_e32 v24, exec_lo, v4
	v_lshlrev_b32_e32 v5, 30, v20
	v_mov_b32_e32 v4, v1
	v_cmp_gt_i64_e32 vcc, 0, v[4:5]
	v_not_b32_e32 v4, v5
	v_ashrrev_i32_e32 v4, 31, v4
	v_and_b32_e32 v0, exec_hi, v0
	v_xor_b32_e32 v5, vcc_hi, v4
	v_xor_b32_e32 v4, vcc_lo, v4
	v_and_b32_e32 v0, v0, v5
	v_and_b32_e32 v24, v24, v4
	v_lshlrev_b32_e32 v5, 29, v20
	v_mov_b32_e32 v4, v1
	v_cmp_gt_i64_e32 vcc, 0, v[4:5]
	v_not_b32_e32 v4, v5
	v_ashrrev_i32_e32 v4, 31, v4
	v_xor_b32_e32 v5, vcc_hi, v4
	v_xor_b32_e32 v4, vcc_lo, v4
	v_and_b32_e32 v0, v0, v5
	v_and_b32_e32 v24, v24, v4
	v_lshlrev_b32_e32 v5, 28, v20
	v_mov_b32_e32 v4, v1
	v_cmp_gt_i64_e32 vcc, 0, v[4:5]
	v_not_b32_e32 v4, v5
	v_ashrrev_i32_e32 v4, 31, v4
	;; [unrolled: 9-line block ×6, first 2 shown]
	v_xor_b32_e32 v5, vcc_hi, v4
	v_xor_b32_e32 v4, vcc_lo, v4
	v_and_b32_e32 v4, v24, v4
	v_and_b32_e32 v5, v0, v5
	v_mbcnt_lo_u32_b32 v0, v4, 0
	v_mbcnt_hi_u32_b32 v20, v5, v0
	v_cmp_eq_u32_e32 vcc, 0, v20
	v_cmp_ne_u64_e64 s[0:1], 0, v[4:5]
	s_and_b64 s[6:7], s[0:1], vcc
	; wave barrier
	s_and_saveexec_b64 s[0:1], s[6:7]
	s_cbranch_execz .LBB18_93
; %bb.92:
	v_bcnt_u32_b32 v0, v4, 0
	v_bcnt_u32_b32 v0, v5, v0
	s_waitcnt lgkmcnt(0)
	v_add_u32_e32 v0, v16, v0
	ds_write_b32 v19, v0 offset:64
.LBB18_93:
	s_or_b64 exec, exec, s[0:1]
	s_waitcnt vmcnt(2)
	v_cmp_lt_i16_e32 vcc, -1, v21
	; wave barrier
	s_nop 1
	v_cndmask_b32_e32 v0, -1, v22, vcc
	v_xor_b32_e32 v21, v0, v21
	v_cmp_ne_u16_e32 vcc, s4, v21
	s_nop 1
	v_cndmask_b32_e32 v0, v22, v21, vcc
	v_lshrrev_b32_sdwa v0, s48, v0 dst_sel:DWORD dst_unused:UNUSED_PAD src0_sel:DWORD src1_sel:WORD_0
	v_and_b32_e32 v25, s14, v0
	v_mul_u32_u24_e32 v0, 17, v25
	v_add_lshl_u32 v24, v18, v0, 2
	v_and_b32_e32 v0, 1, v25
	v_lshl_add_u64 v[4:5], v[0:1], 0, -1
	v_cmp_ne_u32_e32 vcc, 0, v0
	ds_read_b32 v22, v24 offset:64
	s_nop 0
	v_xor_b32_e32 v4, vcc_lo, v4
	v_xor_b32_e32 v0, vcc_hi, v5
	v_and_b32_e32 v26, exec_lo, v4
	v_lshlrev_b32_e32 v5, 30, v25
	v_mov_b32_e32 v4, v1
	v_cmp_gt_i64_e32 vcc, 0, v[4:5]
	v_not_b32_e32 v4, v5
	v_ashrrev_i32_e32 v4, 31, v4
	v_and_b32_e32 v0, exec_hi, v0
	v_xor_b32_e32 v5, vcc_hi, v4
	v_xor_b32_e32 v4, vcc_lo, v4
	v_and_b32_e32 v0, v0, v5
	v_and_b32_e32 v26, v26, v4
	v_lshlrev_b32_e32 v5, 29, v25
	v_mov_b32_e32 v4, v1
	v_cmp_gt_i64_e32 vcc, 0, v[4:5]
	v_not_b32_e32 v4, v5
	v_ashrrev_i32_e32 v4, 31, v4
	v_xor_b32_e32 v5, vcc_hi, v4
	v_xor_b32_e32 v4, vcc_lo, v4
	v_and_b32_e32 v0, v0, v5
	v_and_b32_e32 v26, v26, v4
	v_lshlrev_b32_e32 v5, 28, v25
	v_mov_b32_e32 v4, v1
	v_cmp_gt_i64_e32 vcc, 0, v[4:5]
	v_not_b32_e32 v4, v5
	v_ashrrev_i32_e32 v4, 31, v4
	;; [unrolled: 9-line block ×5, first 2 shown]
	v_xor_b32_e32 v5, vcc_hi, v4
	v_xor_b32_e32 v4, vcc_lo, v4
	v_and_b32_e32 v0, v0, v5
	v_lshlrev_b32_e32 v5, 24, v25
	v_and_b32_e32 v26, v26, v4
	v_mov_b32_e32 v4, v1
	v_not_b32_e32 v1, v5
	v_cmp_gt_i64_e32 vcc, 0, v[4:5]
	v_ashrrev_i32_e32 v1, 31, v1
	; wave barrier
	s_nop 0
	v_xor_b32_e32 v4, vcc_hi, v1
	v_xor_b32_e32 v5, vcc_lo, v1
	v_and_b32_e32 v1, v0, v4
	v_and_b32_e32 v0, v26, v5
	v_mbcnt_lo_u32_b32 v4, v0, 0
	v_mbcnt_hi_u32_b32 v25, v1, v4
	v_cmp_eq_u32_e32 vcc, 0, v25
	v_cmp_ne_u64_e64 s[0:1], 0, v[0:1]
	s_and_b64 s[4:5], s[0:1], vcc
	s_and_saveexec_b64 s[0:1], s[4:5]
	s_cbranch_execz .LBB18_95
; %bb.94:
	v_bcnt_u32_b32 v0, v0, 0
	v_bcnt_u32_b32 v0, v1, v0
	s_waitcnt lgkmcnt(0)
	v_add_u32_e32 v0, v22, v0
	ds_write_b32 v24, v0 offset:64
.LBB18_95:
	s_or_b64 exec, exec, s[0:1]
	v_mov_b32_e32 v30, 0xffff8000
	s_waitcnt vmcnt(1)
	v_cmp_lt_i16_e32 vcc, -1, v23
	s_movk_i32 s4, 0x7fff
	v_mov_b32_e32 v1, 0
	v_cndmask_b32_e32 v0, -1, v30, vcc
	v_xor_b32_e32 v23, v0, v23
	v_cmp_ne_u16_e32 vcc, s4, v23
	; wave barrier
	s_nop 1
	v_cndmask_b32_e32 v0, v30, v23, vcc
	v_lshrrev_b32_sdwa v0, s48, v0 dst_sel:DWORD dst_unused:UNUSED_PAD src0_sel:DWORD src1_sel:WORD_0
	v_and_b32_e32 v28, s14, v0
	v_mul_u32_u24_e32 v0, 17, v28
	v_add_lshl_u32 v27, v0, v18, 2
	v_and_b32_e32 v0, 1, v28
	v_lshl_add_u64 v[4:5], v[0:1], 0, -1
	v_cmp_ne_u32_e32 vcc, 0, v0
	ds_read_b32 v26, v27 offset:64
	s_nop 0
	v_xor_b32_e32 v4, vcc_lo, v4
	v_xor_b32_e32 v0, vcc_hi, v5
	v_and_b32_e32 v29, exec_lo, v4
	v_lshlrev_b32_e32 v5, 30, v28
	v_mov_b32_e32 v4, v1
	v_cmp_gt_i64_e32 vcc, 0, v[4:5]
	v_not_b32_e32 v4, v5
	v_ashrrev_i32_e32 v4, 31, v4
	v_and_b32_e32 v0, exec_hi, v0
	v_xor_b32_e32 v5, vcc_hi, v4
	v_xor_b32_e32 v4, vcc_lo, v4
	v_and_b32_e32 v0, v0, v5
	v_and_b32_e32 v29, v29, v4
	v_lshlrev_b32_e32 v5, 29, v28
	v_mov_b32_e32 v4, v1
	v_cmp_gt_i64_e32 vcc, 0, v[4:5]
	v_not_b32_e32 v4, v5
	v_ashrrev_i32_e32 v4, 31, v4
	v_xor_b32_e32 v5, vcc_hi, v4
	v_xor_b32_e32 v4, vcc_lo, v4
	v_and_b32_e32 v0, v0, v5
	v_and_b32_e32 v29, v29, v4
	v_lshlrev_b32_e32 v5, 28, v28
	v_mov_b32_e32 v4, v1
	v_cmp_gt_i64_e32 vcc, 0, v[4:5]
	v_not_b32_e32 v4, v5
	v_ashrrev_i32_e32 v4, 31, v4
	;; [unrolled: 9-line block ×6, first 2 shown]
	v_xor_b32_e32 v5, vcc_hi, v4
	v_xor_b32_e32 v4, vcc_lo, v4
	v_and_b32_e32 v4, v29, v4
	v_and_b32_e32 v5, v0, v5
	v_mbcnt_lo_u32_b32 v0, v4, 0
	v_mbcnt_hi_u32_b32 v28, v5, v0
	v_cmp_eq_u32_e32 vcc, 0, v28
	v_cmp_ne_u64_e64 s[0:1], 0, v[4:5]
	s_and_b64 s[6:7], s[0:1], vcc
	; wave barrier
	s_and_saveexec_b64 s[0:1], s[6:7]
	s_cbranch_execz .LBB18_97
; %bb.96:
	v_bcnt_u32_b32 v0, v4, 0
	v_bcnt_u32_b32 v0, v5, v0
	s_waitcnt lgkmcnt(0)
	v_add_u32_e32 v0, v26, v0
	ds_write_b32 v27, v0 offset:64
.LBB18_97:
	s_or_b64 exec, exec, s[0:1]
	s_waitcnt vmcnt(0)
	v_cmp_lt_i16_e32 vcc, -1, v17
	; wave barrier
	s_nop 1
	v_cndmask_b32_e32 v0, -1, v30, vcc
	v_xor_b32_e32 v29, v0, v17
	v_cmp_ne_u16_e32 vcc, s4, v29
	v_add_u32_e32 v31, 64, v6
	s_nop 0
	v_cndmask_b32_e32 v0, v30, v29, vcc
	v_lshrrev_b32_sdwa v0, s48, v0 dst_sel:DWORD dst_unused:UNUSED_PAD src0_sel:DWORD src1_sel:WORD_0
	v_and_b32_e32 v32, s14, v0
	v_mul_u32_u24_e32 v0, 17, v32
	v_add_lshl_u32 v17, v0, v18, 2
	v_and_b32_e32 v0, 1, v32
	v_lshl_add_u64 v[4:5], v[0:1], 0, -1
	v_cmp_ne_u32_e32 vcc, 0, v0
	ds_read_b32 v30, v17 offset:64
	s_nop 0
	v_xor_b32_e32 v4, vcc_lo, v4
	v_xor_b32_e32 v0, vcc_hi, v5
	v_and_b32_e32 v18, exec_lo, v4
	v_lshlrev_b32_e32 v5, 30, v32
	v_mov_b32_e32 v4, v1
	v_cmp_gt_i64_e32 vcc, 0, v[4:5]
	v_not_b32_e32 v4, v5
	v_ashrrev_i32_e32 v4, 31, v4
	v_and_b32_e32 v0, exec_hi, v0
	v_xor_b32_e32 v5, vcc_hi, v4
	v_xor_b32_e32 v4, vcc_lo, v4
	v_and_b32_e32 v0, v0, v5
	v_and_b32_e32 v18, v18, v4
	v_lshlrev_b32_e32 v5, 29, v32
	v_mov_b32_e32 v4, v1
	v_cmp_gt_i64_e32 vcc, 0, v[4:5]
	v_not_b32_e32 v4, v5
	v_ashrrev_i32_e32 v4, 31, v4
	v_xor_b32_e32 v5, vcc_hi, v4
	v_xor_b32_e32 v4, vcc_lo, v4
	v_and_b32_e32 v0, v0, v5
	v_and_b32_e32 v18, v18, v4
	v_lshlrev_b32_e32 v5, 28, v32
	v_mov_b32_e32 v4, v1
	v_cmp_gt_i64_e32 vcc, 0, v[4:5]
	v_not_b32_e32 v4, v5
	v_ashrrev_i32_e32 v4, 31, v4
	;; [unrolled: 9-line block ×5, first 2 shown]
	v_xor_b32_e32 v5, vcc_hi, v4
	v_xor_b32_e32 v4, vcc_lo, v4
	v_and_b32_e32 v0, v0, v5
	v_lshlrev_b32_e32 v5, 24, v32
	v_and_b32_e32 v18, v18, v4
	v_mov_b32_e32 v4, v1
	v_not_b32_e32 v1, v5
	v_cmp_gt_i64_e32 vcc, 0, v[4:5]
	v_ashrrev_i32_e32 v1, 31, v1
	; wave barrier
	s_nop 0
	v_xor_b32_e32 v4, vcc_hi, v1
	v_xor_b32_e32 v5, vcc_lo, v1
	v_and_b32_e32 v1, v0, v4
	v_and_b32_e32 v0, v18, v5
	v_mbcnt_lo_u32_b32 v4, v0, 0
	v_mbcnt_hi_u32_b32 v32, v1, v4
	v_cmp_eq_u32_e32 vcc, 0, v32
	v_cmp_ne_u64_e64 s[0:1], 0, v[0:1]
	s_and_b64 s[4:5], s[0:1], vcc
	s_and_saveexec_b64 s[0:1], s[4:5]
	s_cbranch_execz .LBB18_99
; %bb.98:
	v_bcnt_u32_b32 v0, v0, 0
	v_bcnt_u32_b32 v0, v1, v0
	s_waitcnt lgkmcnt(0)
	v_add_u32_e32 v0, v30, v0
	ds_write_b32 v17, v0 offset:64
.LBB18_99:
	s_or_b64 exec, exec, s[0:1]
	; wave barrier
	s_waitcnt lgkmcnt(0)
	s_barrier
	ds_read2_b32 v[4:5], v6 offset0:16 offset1:17
	ds_read2_b32 v[0:1], v31 offset0:2 offset1:3
	ds_read_b32 v18, v31 offset:16
	v_cmp_lt_u32_e64 s[8:9], 31, v13
	s_waitcnt lgkmcnt(1)
	v_add3_u32 v33, v5, v4, v0
	s_waitcnt lgkmcnt(0)
	v_add3_u32 v18, v33, v1, v18
	v_and_b32_e32 v33, 15, v13
	v_cmp_eq_u32_e32 vcc, 0, v33
	v_mov_b32_dpp v34, v18 row_shr:1 row_mask:0xf bank_mask:0xf
	v_cmp_lt_u32_e64 s[0:1], 1, v33
	v_cndmask_b32_e64 v34, v34, 0, vcc
	v_add_u32_e32 v18, v34, v18
	v_cmp_lt_u32_e64 s[6:7], 3, v33
	v_cmp_lt_u32_e64 s[4:5], 7, v33
	v_mov_b32_dpp v34, v18 row_shr:2 row_mask:0xf bank_mask:0xf
	v_cndmask_b32_e64 v34, 0, v34, s[0:1]
	v_add_u32_e32 v18, v18, v34
	s_nop 1
	v_mov_b32_dpp v34, v18 row_shr:4 row_mask:0xf bank_mask:0xf
	v_cndmask_b32_e64 v34, 0, v34, s[6:7]
	v_add_u32_e32 v18, v18, v34
	s_nop 1
	v_mov_b32_dpp v34, v18 row_shr:8 row_mask:0xf bank_mask:0xf
	v_cndmask_b32_e64 v33, 0, v34, s[4:5]
	v_add_u32_e32 v18, v18, v33
	v_bfe_i32 v34, v13, 4, 1
	s_nop 0
	v_mov_b32_dpp v33, v18 row_bcast:15 row_mask:0xf bank_mask:0xf
	v_and_b32_e32 v33, v34, v33
	v_add_u32_e32 v18, v18, v33
	v_and_b32_e32 v34, 63, v2
	s_nop 0
	v_mov_b32_dpp v33, v18 row_bcast:31 row_mask:0xf bank_mask:0xf
	v_cndmask_b32_e64 v33, 0, v33, s[8:9]
	v_add_u32_e32 v18, v18, v33
	v_lshrrev_b32_e32 v33, 6, v2
	v_cmp_eq_u32_e64 s[8:9], 63, v34
	s_and_saveexec_b64 s[12:13], s[8:9]
	s_cbranch_execz .LBB18_101
; %bb.100:
	v_lshlrev_b32_e32 v34, 2, v33
	ds_write_b32 v34, v18
.LBB18_101:
	s_or_b64 exec, exec, s[12:13]
	v_cmp_gt_u32_e64 s[8:9], 16, v2
	s_waitcnt lgkmcnt(0)
	s_barrier
	s_and_saveexec_b64 s[12:13], s[8:9]
	s_cbranch_execz .LBB18_103
; %bb.102:
	v_lshlrev_b32_e32 v34, 2, v2
	ds_read_b32 v35, v34
	s_waitcnt lgkmcnt(0)
	s_nop 0
	v_mov_b32_dpp v36, v35 row_shr:1 row_mask:0xf bank_mask:0xf
	v_cndmask_b32_e64 v36, v36, 0, vcc
	v_add_u32_e32 v35, v36, v35
	s_nop 1
	v_mov_b32_dpp v36, v35 row_shr:2 row_mask:0xf bank_mask:0xf
	v_cndmask_b32_e64 v36, 0, v36, s[0:1]
	v_add_u32_e32 v35, v35, v36
	s_nop 1
	v_mov_b32_dpp v36, v35 row_shr:4 row_mask:0xf bank_mask:0xf
	v_cndmask_b32_e64 v36, 0, v36, s[6:7]
	;; [unrolled: 4-line block ×3, first 2 shown]
	v_add_u32_e32 v35, v35, v36
	ds_write_b32 v34, v35
.LBB18_103:
	s_or_b64 exec, exec, s[12:13]
	v_cmp_lt_u32_e32 vcc, 63, v2
	v_mov_b32_e32 v34, 0
	s_waitcnt lgkmcnt(0)
	s_barrier
	s_and_saveexec_b64 s[0:1], vcc
	s_cbranch_execz .LBB18_105
; %bb.104:
	v_lshl_add_u32 v33, v33, 2, -4
	ds_read_b32 v34, v33
.LBB18_105:
	s_or_b64 exec, exec, s[0:1]
	v_add_u32_e32 v33, -1, v13
	v_and_b32_e32 v35, 64, v13
	v_cmp_lt_i32_e32 vcc, v33, v35
	s_waitcnt lgkmcnt(0)
	v_add_u32_e32 v18, v34, v18
	s_movk_i32 s4, 0xff
	v_cndmask_b32_e32 v33, v33, v13, vcc
	v_lshlrev_b32_e32 v33, 2, v33
	ds_bpermute_b32 v18, v33, v18
	v_cmp_eq_u32_e32 vcc, 0, v13
	s_movk_i32 s5, 0x100
	v_cmp_lt_u32_e64 s[0:1], s4, v2
	s_waitcnt lgkmcnt(0)
	v_cndmask_b32_e32 v18, v18, v34, vcc
	v_cmp_ne_u32_e32 vcc, 0, v2
	s_nop 1
	v_cndmask_b32_e32 v18, 0, v18, vcc
	v_add_u32_e32 v4, v18, v4
	v_add_u32_e32 v5, v4, v5
	v_add_u32_e32 v0, v5, v0
	v_add_u32_e32 v1, v0, v1
	ds_write2_b32 v6, v18, v4 offset0:16 offset1:17
	ds_write2_b32 v31, v5, v0 offset0:2 offset1:3
	ds_write_b32 v31, v1 offset:16
	s_waitcnt lgkmcnt(0)
	s_barrier
	ds_read_b32 v5, v7 offset:64
	ds_read_b32 v6, v11 offset:64
	;; [unrolled: 1-line block ×6, first 2 shown]
	v_cmp_gt_u32_e32 vcc, s5, v2
	v_mov_b64_e32 v[0:1], 0
                                        ; implicit-def: $vgpr4
	s_and_saveexec_b64 s[6:7], vcc
	s_cbranch_execz .LBB18_109
; %bb.106:
	v_mul_u32_u24_e32 v0, 17, v2
	v_lshlrev_b32_e32 v4, 2, v0
	ds_read_b32 v0, v4 offset:64
	v_cmp_ne_u32_e64 s[4:5], s4, v2
	v_mov_b32_e32 v1, 0x1800
	s_and_saveexec_b64 s[8:9], s[4:5]
	s_cbranch_execz .LBB18_108
; %bb.107:
	ds_read_b32 v1, v4 offset:132
.LBB18_108:
	s_or_b64 exec, exec, s[8:9]
	s_waitcnt lgkmcnt(0)
	v_sub_u32_e32 v4, v1, v0
	v_mov_b32_e32 v1, 0
.LBB18_109:
	s_or_b64 exec, exec, s[6:7]
	s_waitcnt lgkmcnt(5)
	v_add_u32_e32 v19, v5, v8
	s_waitcnt lgkmcnt(4)
	v_add3_u32 v18, v14, v10, v6
	v_lshlrev_b32_e32 v6, 1, v19
	s_waitcnt lgkmcnt(3)
	v_add3_u32 v17, v20, v16, v7
	s_waitcnt lgkmcnt(0)
	s_barrier
	ds_write_b16 v6, v3 offset:2048
	v_lshlrev_b32_e32 v3, 1, v18
	v_add3_u32 v16, v25, v22, v11
	ds_write_b16 v3, v9 offset:2048
	v_lshlrev_b32_e32 v3, 1, v17
	v_add3_u32 v14, v28, v26, v24
	;; [unrolled: 3-line block ×3, first 2 shown]
	ds_write_b16 v3, v21 offset:2048
	v_lshlrev_b32_e32 v3, 1, v14
	ds_write_b16 v3, v23 offset:2048
	v_lshlrev_b32_e32 v3, 1, v5
	ds_write_b16 v3, v29 offset:2048
	s_waitcnt lgkmcnt(0)
	s_barrier
	s_and_saveexec_b64 s[4:5], s[0:1]
	s_xor_b64 s[0:1], exec, s[4:5]
; %bb.110:
	v_mov_b32_e32 v3, 0
; %bb.111:
	s_andn2_saveexec_b64 s[4:5], s[0:1]
	s_cbranch_execz .LBB18_121
; %bb.112:
	v_lshl_or_b32 v8, s2, 8, v2
	v_mov_b32_e32 v9, 0
	v_lshl_add_u64 v[6:7], v[8:9], 2, s[34:35]
	v_or_b32_e32 v3, 2.0, v4
	s_mov_b64 s[6:7], 0
	s_brev_b32 s15, 1
	s_mov_b32 s16, s2
	v_mov_b32_e32 v15, 0
	global_store_dword v[6:7], v3, off sc1
                                        ; implicit-def: $sgpr0_sgpr1
	s_branch .LBB18_115
.LBB18_113:                             ;   in Loop: Header=BB18_115 Depth=1
	s_or_b64 exec, exec, s[12:13]
.LBB18_114:                             ;   in Loop: Header=BB18_115 Depth=1
	s_or_b64 exec, exec, s[8:9]
	v_and_b32_e32 v8, 0x3fffffff, v8
	v_add_u32_e32 v15, v8, v15
	v_cmp_eq_u32_e64 s[0:1], s15, v3
	s_and_b64 s[8:9], exec, s[0:1]
	s_or_b64 s[6:7], s[8:9], s[6:7]
	s_andn2_b64 exec, exec, s[6:7]
	s_cbranch_execz .LBB18_120
.LBB18_115:                             ; =>This Loop Header: Depth=1
                                        ;     Child Loop BB18_118 Depth 2
	s_or_b64 s[0:1], s[0:1], exec
	s_cmp_eq_u32 s16, 0
	s_cbranch_scc1 .LBB18_119
; %bb.116:                              ;   in Loop: Header=BB18_115 Depth=1
	s_add_i32 s16, s16, -1
	v_lshl_or_b32 v8, s16, 8, v2
	v_lshl_add_u64 v[10:11], v[8:9], 2, s[34:35]
	global_load_dword v8, v[10:11], off sc1
	s_waitcnt vmcnt(0)
	v_and_b32_e32 v3, -2.0, v8
	v_cmp_eq_u32_e64 s[0:1], 0, v3
	s_and_saveexec_b64 s[8:9], s[0:1]
	s_cbranch_execz .LBB18_114
; %bb.117:                              ;   in Loop: Header=BB18_115 Depth=1
	s_mov_b64 s[12:13], 0
.LBB18_118:                             ;   Parent Loop BB18_115 Depth=1
                                        ; =>  This Inner Loop Header: Depth=2
	global_load_dword v8, v[10:11], off sc1
	s_waitcnt vmcnt(0)
	v_and_b32_e32 v3, -2.0, v8
	v_cmp_ne_u32_e64 s[0:1], 0, v3
	s_or_b64 s[12:13], s[0:1], s[12:13]
	s_andn2_b64 exec, exec, s[12:13]
	s_cbranch_execnz .LBB18_118
	s_branch .LBB18_113
.LBB18_119:                             ;   in Loop: Header=BB18_115 Depth=1
                                        ; implicit-def: $sgpr16
	s_and_b64 s[8:9], exec, s[0:1]
	s_or_b64 s[6:7], s[8:9], s[6:7]
	s_andn2_b64 exec, exec, s[6:7]
	s_cbranch_execnz .LBB18_115
.LBB18_120:
	s_or_b64 exec, exec, s[6:7]
	v_add_u32_e32 v3, v15, v4
	v_or_b32_e32 v3, 0x80000000, v3
	global_store_dword v[6:7], v3, off sc1
	v_lshlrev_b32_e32 v10, 3, v2
	global_load_dwordx2 v[6:7], v10, s[44:45]
	v_sub_co_u32_e64 v8, s[0:1], v15, v0
	v_mov_b32_e32 v3, 0
	s_nop 0
	v_subb_co_u32_e64 v9, s[0:1], 0, v1, s[0:1]
	s_waitcnt vmcnt(0)
	v_lshl_add_u64 v[6:7], v[8:9], 0, v[6:7]
	ds_write_b64 v10, v[6:7]
.LBB18_121:
	s_or_b64 exec, exec, s[4:5]
	v_lshlrev_b32_e32 v15, 1, v2
	s_waitcnt lgkmcnt(0)
	s_barrier
	ds_read_u16 v40, v15 offset:8192
	ds_read_u16 v43, v15 offset:12288
	ds_read_u16 v44, v15 offset:6144
	ds_read_u16 v45, v15 offset:10240
	s_movk_i32 s4, 0x7fff
	v_mov_b32_e32 v41, 0xffff8000
	s_waitcnt lgkmcnt(3)
	v_cmp_ne_u16_e64 s[0:1], s4, v40
	v_or_b32_e32 v42, 0x800, v2
	v_or_b32_e32 v50, 0xc00, v2
	v_cndmask_b32_e64 v6, v41, v40, s[0:1]
	v_lshrrev_b32_sdwa v6, s48, v6 dst_sel:DWORD dst_unused:UNUSED_PAD src0_sel:DWORD src1_sel:WORD_0
	s_waitcnt lgkmcnt(1)
	v_cmp_ne_u16_e64 s[0:1], s4, v44
	v_and_b32_e32 v6, s14, v6
	v_lshlrev_b32_e32 v47, 3, v6
	v_cndmask_b32_e64 v7, v41, v44, s[0:1]
	s_waitcnt lgkmcnt(0)
	v_cmp_ne_u16_e64 s[0:1], s4, v45
	v_lshrrev_b32_sdwa v7, s48, v7 dst_sel:DWORD dst_unused:UNUSED_PAD src0_sel:DWORD src1_sel:WORD_0
	v_and_b32_e32 v7, s14, v7
	v_cndmask_b32_e64 v6, v41, v45, s[0:1]
	v_lshrrev_b32_sdwa v6, s48, v6 dst_sel:DWORD dst_unused:UNUSED_PAD src0_sel:DWORD src1_sel:WORD_0
	v_and_b32_e32 v6, s14, v6
	v_cmp_ne_u16_e64 s[0:1], s4, v43
	v_lshlrev_b32_e32 v48, 3, v6
	v_lshlrev_b32_e32 v46, 3, v7
	v_cndmask_b32_e64 v6, v41, v43, s[0:1]
	v_lshrrev_b32_sdwa v6, s48, v6 dst_sel:DWORD dst_unused:UNUSED_PAD src0_sel:DWORD src1_sel:WORD_0
	v_and_b32_e32 v8, s14, v6
	ds_read_b64 v[6:7], v46
	v_lshlrev_b32_e32 v49, 3, v8
	ds_read_b64 v[8:9], v47
	ds_read_b64 v[10:11], v48
	;; [unrolled: 1-line block ×3, first 2 shown]
	v_or_b32_e32 v51, 0x1000, v2
	v_or_b32_e32 v52, 0x1400, v2
	s_waitcnt lgkmcnt(3)
	v_lshl_add_u64 v[22:23], v[6:7], 1, s[38:39]
	v_lshlrev_b32_e32 v6, 1, v42
	v_mov_b32_e32 v7, 0
	v_lshl_add_u64 v[22:23], v[22:23], 0, v[6:7]
	s_waitcnt lgkmcnt(2)
	v_lshl_add_u64 v[8:9], v[8:9], 1, s[38:39]
	v_lshlrev_b32_e32 v6, 1, v50
	v_lshl_add_u64 v[8:9], v[8:9], 0, v[6:7]
	s_waitcnt lgkmcnt(1)
	v_lshl_add_u64 v[10:11], v[10:11], 1, s[38:39]
	v_lshlrev_b32_e32 v6, 1, v51
	s_lshl_b64 s[0:1], s[30:31], 3
	v_lshl_add_u64 v[10:11], v[10:11], 0, v[6:7]
	s_waitcnt lgkmcnt(0)
	v_lshl_add_u64 v[20:21], v[20:21], 1, s[38:39]
	v_lshlrev_b32_e32 v6, 1, v52
	s_add_u32 s0, s40, s0
	v_lshl_add_u64 v[20:21], v[20:21], 0, v[6:7]
	s_addc_u32 s1, s41, s1
	v_lshlrev_b32_e32 v6, 3, v13
	v_lshl_add_u64 v[24:25], s[0:1], 0, v[6:7]
	v_lshlrev_b32_e32 v6, 3, v12
	v_lshl_add_u64 v[12:13], v[24:25], 0, v[6:7]
	global_load_dwordx2 v[24:25], v[12:13], off
	global_load_dwordx2 v[26:27], v[12:13], off offset:512
	global_load_dwordx2 v[28:29], v[12:13], off offset:1024
	;; [unrolled: 1-line block ×5, first 2 shown]
	v_lshlrev_b32_e32 v6, 1, v2
	ds_read_u16 v6, v6 offset:2048
	ds_read_u16 v53, v15 offset:4096
	v_lshlrev_b32_e32 v5, 3, v5
	s_add_i32 s3, s3, -1
	s_cmp_eq_u32 s2, s3
	s_waitcnt lgkmcnt(1)
	v_cmp_ne_u16_e64 s[0:1], s4, v6
	s_nop 1
	v_cndmask_b32_e64 v12, v41, v6, s[0:1]
	v_lshrrev_b32_sdwa v12, s48, v12 dst_sel:DWORD dst_unused:UNUSED_PAD src0_sel:DWORD src1_sel:WORD_0
	v_and_b32_e32 v12, s14, v12
	s_waitcnt lgkmcnt(0)
	v_cmp_ne_u16_e64 s[0:1], s4, v53
	v_lshlrev_b32_e32 v54, 3, v12
	ds_read_b64 v[12:13], v54
	v_cndmask_b32_e64 v36, v41, v53, s[0:1]
	v_lshrrev_b32_sdwa v36, s48, v36 dst_sel:DWORD dst_unused:UNUSED_PAD src0_sel:DWORD src1_sel:WORD_0
	v_and_b32_e32 v36, s14, v36
	v_lshlrev_b32_e32 v55, 3, v36
	ds_read_b64 v[36:37], v55
	v_cmp_lt_i16_e64 s[0:1], -1, v6
	s_waitcnt lgkmcnt(1)
	v_lshl_add_u64 v[12:13], v[12:13], 1, s[38:39]
	v_cndmask_b32_e64 v38, v41, -1, s[0:1]
	v_xor_b32_e32 v6, v38, v6
	v_lshlrev_b64 v[38:39], 1, v[2:3]
	v_lshl_add_u64 v[12:13], v[12:13], 0, v[38:39]
	v_cmp_lt_i16_e64 s[0:1], -1, v53
	global_store_short v[12:13], v6, off
	v_or_b32_e32 v6, 0x800, v15
	v_cndmask_b32_e64 v12, v41, -1, s[0:1]
	v_xor_b32_e32 v15, v12, v53
	s_waitcnt lgkmcnt(0)
	v_lshl_add_u64 v[12:13], v[36:37], 1, s[38:39]
	v_lshl_add_u64 v[12:13], v[12:13], 0, v[38:39]
	v_cmp_lt_i16_e64 s[0:1], -1, v44
	global_store_short v[12:13], v15, off offset:2048
	s_nop 0
	v_cndmask_b32_e64 v12, v41, -1, s[0:1]
	v_xor_b32_e32 v12, v12, v44
	v_cmp_lt_i16_e64 s[0:1], -1, v40
	global_store_short v[22:23], v12, off
	s_nop 0
	v_cndmask_b32_e64 v12, v41, -1, s[0:1]
	v_xor_b32_e32 v12, v12, v40
	v_cmp_lt_i16_e64 s[0:1], -1, v45
	global_store_short v[8:9], v12, off
	;; [unrolled: 5-line block ×3, first 2 shown]
	s_nop 0
	v_cndmask_b32_e64 v8, v41, -1, s[0:1]
	v_xor_b32_e32 v8, v8, v43
	global_store_short v[20:21], v8, off
	v_lshlrev_b32_e32 v8, 3, v19
	s_barrier
	s_cselect_b64 s[0:1], -1, 0
	s_and_b64 s[2:3], vcc, s[0:1]
	s_waitcnt vmcnt(11)
	ds_write_b64 v8, v[24:25] offset:2048
	v_lshlrev_b32_e32 v8, 3, v18
	s_waitcnt vmcnt(10)
	ds_write_b64 v8, v[26:27] offset:2048
	v_lshlrev_b32_e32 v8, 3, v17
	;; [unrolled: 3-line block ×4, first 2 shown]
	s_waitcnt vmcnt(7)
	ds_write_b64 v8, v[32:33] offset:2048
	s_waitcnt vmcnt(6)
	ds_write_b64 v5, v[34:35] offset:2048
	s_waitcnt lgkmcnt(0)
	s_barrier
	ds_read_b64 v[8:9], v54
	v_lshlrev_b32_e32 v5, 3, v2
	ds_read_b64 v[12:13], v55
	ds_read_b64 v[14:15], v46
	;; [unrolled: 1-line block ×3, first 2 shown]
	ds_read_b64 v[10:11], v5 offset:2048
	v_mad_u32_u24 v5, v2, 6, v6
	s_waitcnt lgkmcnt(4)
	v_lshl_add_u64 v[8:9], v[8:9], 3, s[42:43]
	v_lshl_add_u64 v[8:9], v[2:3], 3, v[8:9]
	ds_read_b64 v[18:19], v48
	ds_read_b64 v[20:21], v5 offset:40960
	ds_read_b64 v[22:23], v49
	s_waitcnt lgkmcnt(3)
	global_store_dwordx2 v[8:9], v[10:11], off
	ds_read2st64_b64 v[8:11], v5 offset0:16 offset1:32
	v_mov_b32_e32 v6, 0x2000
	v_lshl_add_u64 v[12:13], v[12:13], 3, s[42:43]
	v_lshl_or_b32 v6, v2, 3, v6
	v_lshl_add_u64 v[12:13], v[12:13], 0, v[6:7]
	s_waitcnt lgkmcnt(0)
	global_store_dwordx2 v[12:13], v[8:9], off
	v_lshl_add_u64 v[8:9], v[14:15], 3, s[42:43]
	ds_read2st64_b64 v[12:15], v5 offset0:48 offset1:64
	v_lshlrev_b32_e32 v6, 3, v42
	v_lshl_add_u64 v[8:9], v[8:9], 0, v[6:7]
	global_store_dwordx2 v[8:9], v[10:11], off
	v_lshl_add_u64 v[8:9], v[16:17], 3, s[42:43]
	v_lshlrev_b32_e32 v6, 3, v50
	v_lshl_add_u64 v[8:9], v[8:9], 0, v[6:7]
	s_waitcnt lgkmcnt(0)
	global_store_dwordx2 v[8:9], v[12:13], off
	v_lshl_add_u64 v[8:9], v[18:19], 3, s[42:43]
	v_lshlrev_b32_e32 v6, 3, v51
	v_lshl_add_u64 v[8:9], v[8:9], 0, v[6:7]
	global_store_dwordx2 v[8:9], v[14:15], off
	v_lshl_add_u64 v[8:9], v[22:23], 3, s[42:43]
	v_lshlrev_b32_e32 v6, 3, v52
	v_lshl_add_u64 v[8:9], v[8:9], 0, v[6:7]
	global_store_dwordx2 v[8:9], v[20:21], off
                                        ; implicit-def: $vgpr8_vgpr9
	s_and_saveexec_b64 s[0:1], s[2:3]
; %bb.122:
	v_mov_b32_e32 v5, v7
	v_lshl_add_u64 v[8:9], v[0:1], 0, v[4:5]
	s_or_b64 s[10:11], s[10:11], exec
; %bb.123:
	s_or_b64 exec, exec, s[0:1]
.LBB18_124:
	s_and_saveexec_b64 s[0:1], s[10:11]
	s_cbranch_execnz .LBB18_126
; %bb.125:
	s_endpgm
.LBB18_126:
	v_lshlrev_b32_e32 v0, 3, v2
	ds_read_b64 v[0:1], v0
	v_mov_b32_e32 v4, s46
	v_mov_b32_e32 v5, s47
	v_lshl_add_u64 v[2:3], v[2:3], 3, v[4:5]
	s_waitcnt lgkmcnt(0)
	v_lshl_add_u64 v[0:1], v[0:1], 0, v[8:9]
	global_store_dwordx2 v[2:3], v[0:1], off
	s_endpgm
.LBB18_127:
	global_load_dwordx2 v[10:11], v[22:23], off
	s_or_b64 exec, exec, s[28:29]
                                        ; implicit-def: $vgpr12_vgpr13
	s_and_saveexec_b64 s[28:29], s[26:27]
	s_cbranch_execz .LBB18_59
.LBB18_128:
	global_load_dwordx2 v[12:13], v[22:23], off offset:512
	s_or_b64 exec, exec, s[28:29]
                                        ; implicit-def: $vgpr14_vgpr15
	s_and_saveexec_b64 s[26:27], s[4:5]
	s_cbranch_execz .LBB18_60
.LBB18_129:
	global_load_dwordx2 v[14:15], v[22:23], off offset:1024
	s_or_b64 exec, exec, s[26:27]
                                        ; implicit-def: $vgpr16_vgpr17
	s_and_saveexec_b64 s[4:5], s[6:7]
	s_cbranch_execz .LBB18_61
.LBB18_130:
	global_load_dwordx2 v[16:17], v[22:23], off offset:1536
	s_or_b64 exec, exec, s[4:5]
                                        ; implicit-def: $vgpr18_vgpr19
	s_and_saveexec_b64 s[4:5], s[8:9]
	s_cbranch_execz .LBB18_62
.LBB18_131:
	global_load_dwordx2 v[18:19], v[22:23], off offset:2048
	s_or_b64 exec, exec, s[4:5]
                                        ; implicit-def: $vgpr20_vgpr21
	s_and_saveexec_b64 s[4:5], s[10:11]
	s_cbranch_execnz .LBB18_63
	s_branch .LBB18_64
.LBB18_132:
	v_lshlrev_b32_e32 v7, 3, v9
	ds_read_b64 v[10:11], v7
	ds_read_b64 v[12:13], v8 offset:2048
	v_mov_b32_e32 v9, 0
	s_waitcnt lgkmcnt(1)
	v_lshl_add_u64 v[10:11], v[10:11], 3, s[42:43]
	v_lshl_add_u64 v[10:11], v[10:11], 0, v[8:9]
	s_waitcnt lgkmcnt(0)
	global_store_dwordx2 v[10:11], v[12:13], off
	s_or_b64 exec, exec, s[4:5]
	s_and_saveexec_b64 s[4:5], s[16:17]
	s_cbranch_execz .LBB18_78
.LBB18_133:
	v_lshlrev_b32_e32 v7, 3, v23
	ds_read_b64 v[10:11], v7
	ds_read_b64 v[12:13], v8 offset:10240
	v_lshlrev_b32_e32 v14, 3, v29
	v_mov_b32_e32 v15, 0
	s_waitcnt lgkmcnt(1)
	v_lshl_add_u64 v[10:11], v[10:11], 3, s[42:43]
	v_lshl_add_u64 v[10:11], v[10:11], 0, v[14:15]
	s_waitcnt lgkmcnt(0)
	global_store_dwordx2 v[10:11], v[12:13], off
	s_or_b64 exec, exec, s[4:5]
	s_and_saveexec_b64 s[4:5], s[18:19]
	s_cbranch_execz .LBB18_79
.LBB18_134:
	v_lshlrev_b32_e32 v7, 3, v35
	ds_read_b64 v[10:11], v7
	ds_read_b64 v[12:13], v8 offset:18432
	v_lshlrev_b32_e32 v14, 3, v30
	v_mov_b32_e32 v15, 0
	s_waitcnt lgkmcnt(1)
	v_lshl_add_u64 v[10:11], v[10:11], 3, s[42:43]
	v_lshl_add_u64 v[10:11], v[10:11], 0, v[14:15]
	s_waitcnt lgkmcnt(0)
	global_store_dwordx2 v[10:11], v[12:13], off
	s_or_b64 exec, exec, s[4:5]
	s_and_saveexec_b64 s[4:5], s[20:21]
	s_cbranch_execz .LBB18_80
.LBB18_135:
	v_lshlrev_b32_e32 v7, 3, v22
	ds_read_b64 v[10:11], v7
	ds_read_b64 v[12:13], v8 offset:26624
	v_lshlrev_b32_e32 v14, 3, v31
	v_mov_b32_e32 v15, 0
	s_waitcnt lgkmcnt(1)
	v_lshl_add_u64 v[10:11], v[10:11], 3, s[42:43]
	v_lshl_add_u64 v[10:11], v[10:11], 0, v[14:15]
	s_waitcnt lgkmcnt(0)
	global_store_dwordx2 v[10:11], v[12:13], off
	s_or_b64 exec, exec, s[4:5]
	s_and_saveexec_b64 s[4:5], s[22:23]
	s_cbranch_execz .LBB18_81
.LBB18_136:
	v_lshlrev_b32_e32 v7, 3, v34
	ds_read_b64 v[10:11], v7
	ds_read_b64 v[12:13], v8 offset:34816
	v_lshlrev_b32_e32 v14, 3, v32
	v_mov_b32_e32 v15, 0
	s_waitcnt lgkmcnt(1)
	v_lshl_add_u64 v[10:11], v[10:11], 3, s[42:43]
	v_lshl_add_u64 v[10:11], v[10:11], 0, v[14:15]
	s_waitcnt lgkmcnt(0)
	global_store_dwordx2 v[10:11], v[12:13], off
	s_or_b64 exec, exec, s[4:5]
	s_and_saveexec_b64 s[4:5], s[24:25]
	s_cbranch_execnz .LBB18_82
	s_branch .LBB18_83
	.section	.rodata,"a",@progbits
	.p2align	6, 0x0
	.amdhsa_kernel _ZN7rocprim17ROCPRIM_304000_NS6detail25onesweep_iteration_kernelINS1_34wrapped_radix_sort_onesweep_configINS0_14default_configE12hip_bfloat16N2at4cuda3cub6detail10OpaqueTypeILi8EEEEELb0EPKS5_PS5_PKSB_PSB_mNS0_19identity_decomposerEEEvT1_T2_T3_T4_jPT5_SP_PNS1_23onesweep_lookback_stateET6_jjj
		.amdhsa_group_segment_fixed_size 51200
		.amdhsa_private_segment_fixed_size 0
		.amdhsa_kernarg_size 336
		.amdhsa_user_sgpr_count 2
		.amdhsa_user_sgpr_dispatch_ptr 0
		.amdhsa_user_sgpr_queue_ptr 0
		.amdhsa_user_sgpr_kernarg_segment_ptr 1
		.amdhsa_user_sgpr_dispatch_id 0
		.amdhsa_user_sgpr_kernarg_preload_length 0
		.amdhsa_user_sgpr_kernarg_preload_offset 0
		.amdhsa_user_sgpr_private_segment_size 0
		.amdhsa_uses_dynamic_stack 0
		.amdhsa_enable_private_segment 0
		.amdhsa_system_sgpr_workgroup_id_x 1
		.amdhsa_system_sgpr_workgroup_id_y 0
		.amdhsa_system_sgpr_workgroup_id_z 0
		.amdhsa_system_sgpr_workgroup_info 0
		.amdhsa_system_vgpr_workitem_id 2
		.amdhsa_next_free_vgpr 56
		.amdhsa_next_free_sgpr 52
		.amdhsa_accum_offset 56
		.amdhsa_reserve_vcc 1
		.amdhsa_float_round_mode_32 0
		.amdhsa_float_round_mode_16_64 0
		.amdhsa_float_denorm_mode_32 3
		.amdhsa_float_denorm_mode_16_64 3
		.amdhsa_dx10_clamp 1
		.amdhsa_ieee_mode 1
		.amdhsa_fp16_overflow 0
		.amdhsa_tg_split 0
		.amdhsa_exception_fp_ieee_invalid_op 0
		.amdhsa_exception_fp_denorm_src 0
		.amdhsa_exception_fp_ieee_div_zero 0
		.amdhsa_exception_fp_ieee_overflow 0
		.amdhsa_exception_fp_ieee_underflow 0
		.amdhsa_exception_fp_ieee_inexact 0
		.amdhsa_exception_int_div_zero 0
	.end_amdhsa_kernel
	.section	.text._ZN7rocprim17ROCPRIM_304000_NS6detail25onesweep_iteration_kernelINS1_34wrapped_radix_sort_onesweep_configINS0_14default_configE12hip_bfloat16N2at4cuda3cub6detail10OpaqueTypeILi8EEEEELb0EPKS5_PS5_PKSB_PSB_mNS0_19identity_decomposerEEEvT1_T2_T3_T4_jPT5_SP_PNS1_23onesweep_lookback_stateET6_jjj,"axG",@progbits,_ZN7rocprim17ROCPRIM_304000_NS6detail25onesweep_iteration_kernelINS1_34wrapped_radix_sort_onesweep_configINS0_14default_configE12hip_bfloat16N2at4cuda3cub6detail10OpaqueTypeILi8EEEEELb0EPKS5_PS5_PKSB_PSB_mNS0_19identity_decomposerEEEvT1_T2_T3_T4_jPT5_SP_PNS1_23onesweep_lookback_stateET6_jjj,comdat
.Lfunc_end18:
	.size	_ZN7rocprim17ROCPRIM_304000_NS6detail25onesweep_iteration_kernelINS1_34wrapped_radix_sort_onesweep_configINS0_14default_configE12hip_bfloat16N2at4cuda3cub6detail10OpaqueTypeILi8EEEEELb0EPKS5_PS5_PKSB_PSB_mNS0_19identity_decomposerEEEvT1_T2_T3_T4_jPT5_SP_PNS1_23onesweep_lookback_stateET6_jjj, .Lfunc_end18-_ZN7rocprim17ROCPRIM_304000_NS6detail25onesweep_iteration_kernelINS1_34wrapped_radix_sort_onesweep_configINS0_14default_configE12hip_bfloat16N2at4cuda3cub6detail10OpaqueTypeILi8EEEEELb0EPKS5_PS5_PKSB_PSB_mNS0_19identity_decomposerEEEvT1_T2_T3_T4_jPT5_SP_PNS1_23onesweep_lookback_stateET6_jjj
                                        ; -- End function
	.section	.AMDGPU.csdata,"",@progbits
; Kernel info:
; codeLenInByte = 12196
; NumSgprs: 58
; NumVgprs: 56
; NumAgprs: 0
; TotalNumVgprs: 56
; ScratchSize: 0
; MemoryBound: 0
; FloatMode: 240
; IeeeMode: 1
; LDSByteSize: 51200 bytes/workgroup (compile time only)
; SGPRBlocks: 7
; VGPRBlocks: 6
; NumSGPRsForWavesPerEU: 58
; NumVGPRsForWavesPerEU: 56
; AccumOffset: 56
; Occupancy: 4
; WaveLimiterHint : 1
; COMPUTE_PGM_RSRC2:SCRATCH_EN: 0
; COMPUTE_PGM_RSRC2:USER_SGPR: 2
; COMPUTE_PGM_RSRC2:TRAP_HANDLER: 0
; COMPUTE_PGM_RSRC2:TGID_X_EN: 1
; COMPUTE_PGM_RSRC2:TGID_Y_EN: 0
; COMPUTE_PGM_RSRC2:TGID_Z_EN: 0
; COMPUTE_PGM_RSRC2:TIDIG_COMP_CNT: 2
; COMPUTE_PGM_RSRC3_GFX90A:ACCUM_OFFSET: 13
; COMPUTE_PGM_RSRC3_GFX90A:TG_SPLIT: 0
	.section	.text._ZN7rocprim17ROCPRIM_304000_NS6detail25onesweep_iteration_kernelINS1_34wrapped_radix_sort_onesweep_configINS0_14default_configE12hip_bfloat16N2at4cuda3cub6detail10OpaqueTypeILi8EEEEELb0EPS5_SD_PSB_SE_mNS0_19identity_decomposerEEEvT1_T2_T3_T4_jPT5_SL_PNS1_23onesweep_lookback_stateET6_jjj,"axG",@progbits,_ZN7rocprim17ROCPRIM_304000_NS6detail25onesweep_iteration_kernelINS1_34wrapped_radix_sort_onesweep_configINS0_14default_configE12hip_bfloat16N2at4cuda3cub6detail10OpaqueTypeILi8EEEEELb0EPS5_SD_PSB_SE_mNS0_19identity_decomposerEEEvT1_T2_T3_T4_jPT5_SL_PNS1_23onesweep_lookback_stateET6_jjj,comdat
	.protected	_ZN7rocprim17ROCPRIM_304000_NS6detail25onesweep_iteration_kernelINS1_34wrapped_radix_sort_onesweep_configINS0_14default_configE12hip_bfloat16N2at4cuda3cub6detail10OpaqueTypeILi8EEEEELb0EPS5_SD_PSB_SE_mNS0_19identity_decomposerEEEvT1_T2_T3_T4_jPT5_SL_PNS1_23onesweep_lookback_stateET6_jjj ; -- Begin function _ZN7rocprim17ROCPRIM_304000_NS6detail25onesweep_iteration_kernelINS1_34wrapped_radix_sort_onesweep_configINS0_14default_configE12hip_bfloat16N2at4cuda3cub6detail10OpaqueTypeILi8EEEEELb0EPS5_SD_PSB_SE_mNS0_19identity_decomposerEEEvT1_T2_T3_T4_jPT5_SL_PNS1_23onesweep_lookback_stateET6_jjj
	.globl	_ZN7rocprim17ROCPRIM_304000_NS6detail25onesweep_iteration_kernelINS1_34wrapped_radix_sort_onesweep_configINS0_14default_configE12hip_bfloat16N2at4cuda3cub6detail10OpaqueTypeILi8EEEEELb0EPS5_SD_PSB_SE_mNS0_19identity_decomposerEEEvT1_T2_T3_T4_jPT5_SL_PNS1_23onesweep_lookback_stateET6_jjj
	.p2align	8
	.type	_ZN7rocprim17ROCPRIM_304000_NS6detail25onesweep_iteration_kernelINS1_34wrapped_radix_sort_onesweep_configINS0_14default_configE12hip_bfloat16N2at4cuda3cub6detail10OpaqueTypeILi8EEEEELb0EPS5_SD_PSB_SE_mNS0_19identity_decomposerEEEvT1_T2_T3_T4_jPT5_SL_PNS1_23onesweep_lookback_stateET6_jjj,@function
_ZN7rocprim17ROCPRIM_304000_NS6detail25onesweep_iteration_kernelINS1_34wrapped_radix_sort_onesweep_configINS0_14default_configE12hip_bfloat16N2at4cuda3cub6detail10OpaqueTypeILi8EEEEELb0EPS5_SD_PSB_SE_mNS0_19identity_decomposerEEEvT1_T2_T3_T4_jPT5_SL_PNS1_23onesweep_lookback_stateET6_jjj: ; @_ZN7rocprim17ROCPRIM_304000_NS6detail25onesweep_iteration_kernelINS1_34wrapped_radix_sort_onesweep_configINS0_14default_configE12hip_bfloat16N2at4cuda3cub6detail10OpaqueTypeILi8EEEEELb0EPS5_SD_PSB_SE_mNS0_19identity_decomposerEEEvT1_T2_T3_T4_jPT5_SL_PNS1_23onesweep_lookback_stateET6_jjj
; %bb.0:
	s_load_dwordx4 s[48:51], s[0:1], 0x44
	s_load_dwordx8 s[36:43], s[0:1], 0x0
	s_load_dwordx4 s[44:47], s[0:1], 0x28
	s_load_dwordx2 s[34:35], s[0:1], 0x38
	s_mul_i32 s30, s2, 0x1800
	s_waitcnt lgkmcnt(0)
	s_cmp_ge_u32 s2, s50
	v_mbcnt_lo_u32_b32 v1, -1, 0
	s_cbranch_scc0 .LBB19_86
; %bb.1:
	s_load_dword s3, s[0:1], 0x20
	s_mulk_i32 s50, 0xe800
	s_mov_b32 s31, 0
	v_and_b32_e32 v2, 0x3ff, v0
	s_lshl_b64 s[4:5], s[30:31], 1
	s_waitcnt lgkmcnt(0)
	s_add_i32 s50, s50, s3
	s_add_u32 s4, s36, s4
	v_mbcnt_hi_u32_b32 v14, -1, v1
	v_and_b32_e32 v3, 0x3c0, v2
	s_addc_u32 s5, s37, s5
	v_mul_u32_u24_e32 v3, 6, v3
	v_mov_b32_e32 v5, 0
	v_lshlrev_b32_e32 v4, 1, v14
	v_lshl_add_u64 v[6:7], s[4:5], 0, v[4:5]
	v_lshlrev_b32_e32 v4, 1, v3
	v_lshl_add_u64 v[4:5], v[6:7], 0, v[4:5]
	v_or_b32_e32 v7, v14, v3
	v_cmp_gt_u32_e32 vcc, s50, v7
	v_mov_b32_e32 v11, 0x7fff
	v_mov_b32_e32 v6, 0x7fff
	s_and_saveexec_b64 s[4:5], vcc
	s_cbranch_execz .LBB19_3
; %bb.2:
	global_load_ushort v6, v[4:5], off
.LBB19_3:
	s_or_b64 exec, exec, s[4:5]
	v_add_u32_e32 v8, 64, v7
	v_cmp_gt_u32_e64 s[26:27], s50, v8
	s_and_saveexec_b64 s[4:5], s[26:27]
	s_cbranch_execz .LBB19_5
; %bb.4:
	global_load_ushort v11, v[4:5], off offset:128
.LBB19_5:
	s_or_b64 exec, exec, s[4:5]
	v_add_u32_e32 v8, 0x80, v7
	v_cmp_gt_u32_e64 s[4:5], s50, v8
	v_mov_b32_e32 v23, 0x7fff
	v_mov_b32_e32 v18, 0x7fff
	s_and_saveexec_b64 s[6:7], s[4:5]
	s_cbranch_execz .LBB19_7
; %bb.6:
	global_load_ushort v18, v[4:5], off offset:256
.LBB19_7:
	s_or_b64 exec, exec, s[6:7]
	v_add_u32_e32 v8, 0xc0, v7
	v_cmp_gt_u32_e64 s[6:7], s50, v8
	s_and_saveexec_b64 s[8:9], s[6:7]
	s_cbranch_execz .LBB19_9
; %bb.8:
	global_load_ushort v23, v[4:5], off offset:384
.LBB19_9:
	s_or_b64 exec, exec, s[8:9]
	v_add_u32_e32 v8, 0x100, v7
	v_cmp_gt_u32_e64 s[8:9], s50, v8
	v_mov_b32_e32 v15, 0x7fff
	v_mov_b32_e32 v20, 0x7fff
	s_and_saveexec_b64 s[10:11], s[8:9]
	s_cbranch_execz .LBB19_11
; %bb.10:
	global_load_ushort v20, v[4:5], off offset:512
.LBB19_11:
	s_or_b64 exec, exec, s[10:11]
	v_add_u32_e32 v7, 0x140, v7
	v_cmp_gt_u32_e64 s[10:11], s50, v7
	s_and_saveexec_b64 s[12:13], s[10:11]
	s_cbranch_execz .LBB19_13
; %bb.12:
	global_load_ushort v15, v[4:5], off offset:640
.LBB19_13:
	s_or_b64 exec, exec, s[12:13]
	s_load_dword s12, s[0:1], 0x5c
	s_load_dword s3, s[0:1], 0x50
	s_add_u32 s13, s0, 0x50
	s_addc_u32 s14, s1, 0
	v_mov_b32_e32 v5, 0
	s_waitcnt lgkmcnt(0)
	s_lshr_b32 s15, s12, 16
	s_cmp_lt_u32 s2, s3
	s_cselect_b32 s12, 12, 18
	s_add_u32 s12, s13, s12
	s_addc_u32 s13, s14, 0
	global_load_ushort v10, v5, s[12:13]
	v_mov_b32_e32 v12, 0xffff8000
	s_waitcnt vmcnt(1)
	v_cmp_lt_i16_e64 s[12:13], -1, v6
	s_movk_i32 s28, 0x7fff
	v_bfe_u32 v4, v0, 10, 10
	v_cndmask_b32_e64 v9, -1, v12, s[12:13]
	v_xor_b32_e32 v9, v9, v6
	v_cmp_ne_u16_e64 s[12:13], s28, v9
	v_bfe_u32 v7, v0, 20, 10
	v_mad_u32_u24 v13, v7, s15, v4
	v_cndmask_b32_e64 v6, v12, v9, s[12:13]
	s_lshl_b32 s12, -1, s49
	v_lshrrev_b32_sdwa v6, s48, v6 dst_sel:DWORD dst_unused:UNUSED_PAD src0_sel:DWORD src1_sel:WORD_0
	s_not_b32 s33, s12
	v_and_b32_e32 v19, s33, v6
	v_and_b32_e32 v4, 1, v19
	v_lshlrev_b32_e32 v17, 30, v19
	v_mov_b32_e32 v16, v5
	v_lshlrev_b32_e32 v25, 29, v19
	v_lshl_add_u64 v[6:7], v[4:5], 0, -1
	v_cmp_ne_u32_e64 s[12:13], 0, v4
	v_not_b32_e32 v4, v17
	v_mov_b32_e32 v24, v5
	v_lshlrev_b32_e32 v27, 28, v19
	v_cmp_gt_i64_e64 s[14:15], 0, v[16:17]
	v_not_b32_e32 v16, v25
	v_xor_b32_e32 v7, s13, v7
	v_ashrrev_i32_e32 v4, 31, v4
	v_mov_b32_e32 v26, v5
	v_lshlrev_b32_e32 v29, 27, v19
	v_cmp_gt_i64_e64 s[16:17], 0, v[24:25]
	v_not_b32_e32 v17, v27
	v_xor_b32_e32 v6, s12, v6
	v_ashrrev_i32_e32 v16, 31, v16
	v_and_b32_e32 v7, exec_hi, v7
	v_xor_b32_e32 v25, s15, v4
	v_mov_b32_e32 v28, v5
	v_lshlrev_b32_e32 v31, 26, v19
	v_cmp_gt_i64_e64 s[18:19], 0, v[26:27]
	v_not_b32_e32 v22, v29
	v_ashrrev_i32_e32 v17, 31, v17
	v_and_b32_e32 v6, exec_lo, v6
	v_xor_b32_e32 v4, s14, v4
	v_xor_b32_e32 v26, s17, v16
	v_and_b32_e32 v7, v7, v25
	v_mov_b32_e32 v30, v5
	v_cmp_gt_i64_e64 s[20:21], 0, v[28:29]
	v_not_b32_e32 v24, v31
	v_ashrrev_i32_e32 v22, 31, v22
	v_xor_b32_e32 v16, s16, v16
	v_xor_b32_e32 v27, s19, v17
	v_and_b32_e32 v4, v6, v4
	v_and_b32_e32 v6, v7, v26
	v_cmp_gt_i64_e64 s[22:23], 0, v[30:31]
	v_ashrrev_i32_e32 v24, 31, v24
	v_xor_b32_e32 v17, s18, v17
	v_xor_b32_e32 v28, s21, v22
	v_and_b32_e32 v4, v4, v16
	v_and_b32_e32 v6, v6, v27
	v_xor_b32_e32 v22, s20, v22
	v_xor_b32_e32 v29, s23, v24
	v_and_b32_e32 v4, v4, v17
	v_and_b32_e32 v6, v6, v28
	v_lshlrev_b32_e32 v33, 25, v19
	v_xor_b32_e32 v24, s22, v24
	v_and_b32_e32 v4, v4, v22
	v_and_b32_e32 v16, v6, v29
	v_mov_b32_e32 v32, v5
	v_and_b32_e32 v4, v4, v24
	v_cmp_gt_i64_e64 s[24:25], 0, v[32:33]
	v_mul_u32_u24_e32 v8, 5, v2
	v_mul_u32_u24_e32 v21, 17, v19
	v_lshlrev_b32_e32 v8, 2, v8
	ds_write2_b32 v8, v5, v5 offset0:16 offset1:17
	ds_write2_b32 v8, v5, v5 offset0:18 offset1:19
	ds_write_b32 v8, v5 offset:80
	s_waitcnt lgkmcnt(0)
	s_barrier
	s_waitcnt lgkmcnt(0)
	; wave barrier
	s_waitcnt vmcnt(0)
	v_mad_u64_u32 v[6:7], s[12:13], v13, v10, v[2:3]
	v_lshrrev_b32_e32 v24, 6, v6
	v_not_b32_e32 v6, v33
	v_ashrrev_i32_e32 v6, 31, v6
	v_xor_b32_e32 v7, s25, v6
	v_xor_b32_e32 v6, s24, v6
	v_and_b32_e32 v10, v16, v7
	v_and_b32_e32 v4, v4, v6
	v_lshlrev_b32_e32 v7, 24, v19
	v_mov_b32_e32 v6, v5
	v_cmp_gt_i64_e64 s[12:13], 0, v[6:7]
	v_not_b32_e32 v6, v7
	v_ashrrev_i32_e32 v6, 31, v6
	v_xor_b32_e32 v7, s13, v6
	v_xor_b32_e32 v6, s12, v6
	v_and_b32_e32 v6, v4, v6
	v_and_b32_e32 v7, v10, v7
	v_mbcnt_lo_u32_b32 v4, v6, 0
	v_mbcnt_hi_u32_b32 v10, v7, v4
	v_cmp_eq_u32_e64 s[12:13], 0, v10
	v_cmp_ne_u64_e64 s[14:15], 0, v[6:7]
	v_add_lshl_u32 v13, v24, v21, 2
	s_and_b64 s[14:15], s[14:15], s[12:13]
	s_and_saveexec_b64 s[12:13], s[14:15]
	s_cbranch_execz .LBB19_15
; %bb.14:
	v_bcnt_u32_b32 v4, v6, 0
	v_bcnt_u32_b32 v4, v7, v4
	ds_write_b32 v13, v4 offset:64
.LBB19_15:
	s_or_b64 exec, exec, s[12:13]
	v_cmp_lt_i16_e64 s[12:13], -1, v11
	; wave barrier
	s_nop 1
	v_cndmask_b32_e64 v4, -1, v12, s[12:13]
	v_xor_b32_e32 v11, v4, v11
	v_cmp_ne_u16_e64 s[12:13], s28, v11
	s_nop 1
	v_cndmask_b32_e64 v4, v12, v11, s[12:13]
	v_lshrrev_b32_sdwa v4, s48, v4 dst_sel:DWORD dst_unused:UNUSED_PAD src0_sel:DWORD src1_sel:WORD_0
	v_and_b32_e32 v17, s33, v4
	v_mul_u32_u24_e32 v4, 17, v17
	v_add_lshl_u32 v16, v24, v4, 2
	v_and_b32_e32 v4, 1, v17
	v_lshl_add_u64 v[6:7], v[4:5], 0, -1
	v_cmp_ne_u32_e64 s[12:13], 0, v4
	ds_read_b32 v12, v16 offset:64
	s_nop 0
	v_xor_b32_e32 v6, s12, v6
	v_xor_b32_e32 v4, s13, v7
	v_and_b32_e32 v19, exec_lo, v6
	v_lshlrev_b32_e32 v7, 30, v17
	v_mov_b32_e32 v6, v5
	v_cmp_gt_i64_e64 s[12:13], 0, v[6:7]
	v_not_b32_e32 v6, v7
	v_ashrrev_i32_e32 v6, 31, v6
	v_and_b32_e32 v4, exec_hi, v4
	v_xor_b32_e32 v7, s13, v6
	v_xor_b32_e32 v6, s12, v6
	v_and_b32_e32 v4, v4, v7
	v_and_b32_e32 v19, v19, v6
	v_lshlrev_b32_e32 v7, 29, v17
	v_mov_b32_e32 v6, v5
	v_cmp_gt_i64_e64 s[12:13], 0, v[6:7]
	v_not_b32_e32 v6, v7
	v_ashrrev_i32_e32 v6, 31, v6
	v_xor_b32_e32 v7, s13, v6
	v_xor_b32_e32 v6, s12, v6
	v_and_b32_e32 v4, v4, v7
	v_and_b32_e32 v19, v19, v6
	v_lshlrev_b32_e32 v7, 28, v17
	v_mov_b32_e32 v6, v5
	v_cmp_gt_i64_e64 s[12:13], 0, v[6:7]
	v_not_b32_e32 v6, v7
	v_ashrrev_i32_e32 v6, 31, v6
	;; [unrolled: 9-line block ×5, first 2 shown]
	v_xor_b32_e32 v7, s13, v6
	v_xor_b32_e32 v6, s12, v6
	v_and_b32_e32 v4, v4, v7
	v_lshlrev_b32_e32 v7, 24, v17
	v_and_b32_e32 v19, v19, v6
	v_mov_b32_e32 v6, v5
	v_not_b32_e32 v5, v7
	v_cmp_gt_i64_e64 s[12:13], 0, v[6:7]
	v_ashrrev_i32_e32 v5, 31, v5
	; wave barrier
	s_nop 0
	v_xor_b32_e32 v6, s13, v5
	v_xor_b32_e32 v7, s12, v5
	v_and_b32_e32 v5, v4, v6
	v_and_b32_e32 v4, v19, v7
	v_mbcnt_lo_u32_b32 v6, v4, 0
	v_mbcnt_hi_u32_b32 v17, v5, v6
	v_cmp_eq_u32_e64 s[12:13], 0, v17
	v_cmp_ne_u64_e64 s[14:15], 0, v[4:5]
	s_and_b64 s[14:15], s[14:15], s[12:13]
	s_and_saveexec_b64 s[12:13], s[14:15]
	s_cbranch_execz .LBB19_17
; %bb.16:
	v_bcnt_u32_b32 v4, v4, 0
	v_bcnt_u32_b32 v4, v5, v4
	s_waitcnt lgkmcnt(0)
	v_add_u32_e32 v4, v12, v4
	ds_write_b32 v16, v4 offset:64
.LBB19_17:
	s_or_b64 exec, exec, s[12:13]
	v_mov_b32_e32 v25, 0xffff8000
	v_cmp_lt_i16_e64 s[12:13], -1, v18
	s_movk_i32 s16, 0x7fff
	v_mov_b32_e32 v5, 0
	v_cndmask_b32_e64 v4, -1, v25, s[12:13]
	v_xor_b32_e32 v18, v4, v18
	v_cmp_ne_u16_e64 s[12:13], s16, v18
	; wave barrier
	s_nop 1
	v_cndmask_b32_e64 v4, v25, v18, s[12:13]
	v_lshrrev_b32_sdwa v4, s48, v4 dst_sel:DWORD dst_unused:UNUSED_PAD src0_sel:DWORD src1_sel:WORD_0
	v_and_b32_e32 v22, s33, v4
	v_mul_u32_u24_e32 v4, 17, v22
	v_add_lshl_u32 v21, v24, v4, 2
	v_and_b32_e32 v4, 1, v22
	v_lshl_add_u64 v[6:7], v[4:5], 0, -1
	v_cmp_ne_u32_e64 s[12:13], 0, v4
	ds_read_b32 v19, v21 offset:64
	s_nop 0
	v_xor_b32_e32 v6, s12, v6
	v_xor_b32_e32 v4, s13, v7
	v_and_b32_e32 v26, exec_lo, v6
	v_lshlrev_b32_e32 v7, 30, v22
	v_mov_b32_e32 v6, v5
	v_cmp_gt_i64_e64 s[12:13], 0, v[6:7]
	v_not_b32_e32 v6, v7
	v_ashrrev_i32_e32 v6, 31, v6
	v_and_b32_e32 v4, exec_hi, v4
	v_xor_b32_e32 v7, s13, v6
	v_xor_b32_e32 v6, s12, v6
	v_and_b32_e32 v4, v4, v7
	v_and_b32_e32 v26, v26, v6
	v_lshlrev_b32_e32 v7, 29, v22
	v_mov_b32_e32 v6, v5
	v_cmp_gt_i64_e64 s[12:13], 0, v[6:7]
	v_not_b32_e32 v6, v7
	v_ashrrev_i32_e32 v6, 31, v6
	v_xor_b32_e32 v7, s13, v6
	v_xor_b32_e32 v6, s12, v6
	v_and_b32_e32 v4, v4, v7
	v_and_b32_e32 v26, v26, v6
	v_lshlrev_b32_e32 v7, 28, v22
	v_mov_b32_e32 v6, v5
	v_cmp_gt_i64_e64 s[12:13], 0, v[6:7]
	v_not_b32_e32 v6, v7
	v_ashrrev_i32_e32 v6, 31, v6
	;; [unrolled: 9-line block ×6, first 2 shown]
	v_xor_b32_e32 v7, s13, v6
	v_xor_b32_e32 v6, s12, v6
	v_and_b32_e32 v6, v26, v6
	v_and_b32_e32 v7, v4, v7
	v_mbcnt_lo_u32_b32 v4, v6, 0
	v_mbcnt_hi_u32_b32 v22, v7, v4
	v_cmp_eq_u32_e64 s[12:13], 0, v22
	v_cmp_ne_u64_e64 s[14:15], 0, v[6:7]
	s_and_b64 s[14:15], s[14:15], s[12:13]
	; wave barrier
	s_and_saveexec_b64 s[12:13], s[14:15]
	s_cbranch_execz .LBB19_19
; %bb.18:
	v_bcnt_u32_b32 v4, v6, 0
	v_bcnt_u32_b32 v4, v7, v4
	s_waitcnt lgkmcnt(0)
	v_add_u32_e32 v4, v19, v4
	ds_write_b32 v21, v4 offset:64
.LBB19_19:
	s_or_b64 exec, exec, s[12:13]
	v_cmp_lt_i16_e64 s[12:13], -1, v23
	; wave barrier
	s_nop 1
	v_cndmask_b32_e64 v4, -1, v25, s[12:13]
	v_xor_b32_e32 v23, v4, v23
	v_cmp_ne_u16_e64 s[12:13], s16, v23
	s_nop 1
	v_cndmask_b32_e64 v4, v25, v23, s[12:13]
	v_lshrrev_b32_sdwa v4, s48, v4 dst_sel:DWORD dst_unused:UNUSED_PAD src0_sel:DWORD src1_sel:WORD_0
	v_and_b32_e32 v27, s33, v4
	v_mul_u32_u24_e32 v4, 17, v27
	v_add_lshl_u32 v26, v24, v4, 2
	v_and_b32_e32 v4, 1, v27
	v_lshl_add_u64 v[6:7], v[4:5], 0, -1
	v_cmp_ne_u32_e64 s[12:13], 0, v4
	ds_read_b32 v25, v26 offset:64
	s_nop 0
	v_xor_b32_e32 v6, s12, v6
	v_xor_b32_e32 v4, s13, v7
	v_and_b32_e32 v28, exec_lo, v6
	v_lshlrev_b32_e32 v7, 30, v27
	v_mov_b32_e32 v6, v5
	v_cmp_gt_i64_e64 s[12:13], 0, v[6:7]
	v_not_b32_e32 v6, v7
	v_ashrrev_i32_e32 v6, 31, v6
	v_and_b32_e32 v4, exec_hi, v4
	v_xor_b32_e32 v7, s13, v6
	v_xor_b32_e32 v6, s12, v6
	v_and_b32_e32 v4, v4, v7
	v_and_b32_e32 v28, v28, v6
	v_lshlrev_b32_e32 v7, 29, v27
	v_mov_b32_e32 v6, v5
	v_cmp_gt_i64_e64 s[12:13], 0, v[6:7]
	v_not_b32_e32 v6, v7
	v_ashrrev_i32_e32 v6, 31, v6
	v_xor_b32_e32 v7, s13, v6
	v_xor_b32_e32 v6, s12, v6
	v_and_b32_e32 v4, v4, v7
	v_and_b32_e32 v28, v28, v6
	v_lshlrev_b32_e32 v7, 28, v27
	v_mov_b32_e32 v6, v5
	v_cmp_gt_i64_e64 s[12:13], 0, v[6:7]
	v_not_b32_e32 v6, v7
	v_ashrrev_i32_e32 v6, 31, v6
	;; [unrolled: 9-line block ×5, first 2 shown]
	v_xor_b32_e32 v7, s13, v6
	v_xor_b32_e32 v6, s12, v6
	v_and_b32_e32 v4, v4, v7
	v_lshlrev_b32_e32 v7, 24, v27
	v_and_b32_e32 v28, v28, v6
	v_mov_b32_e32 v6, v5
	v_not_b32_e32 v5, v7
	v_cmp_gt_i64_e64 s[12:13], 0, v[6:7]
	v_ashrrev_i32_e32 v5, 31, v5
	; wave barrier
	s_nop 0
	v_xor_b32_e32 v6, s13, v5
	v_xor_b32_e32 v7, s12, v5
	v_and_b32_e32 v5, v4, v6
	v_and_b32_e32 v4, v28, v7
	v_mbcnt_lo_u32_b32 v6, v4, 0
	v_mbcnt_hi_u32_b32 v29, v5, v6
	v_cmp_eq_u32_e64 s[12:13], 0, v29
	v_cmp_ne_u64_e64 s[14:15], 0, v[4:5]
	s_and_b64 s[14:15], s[14:15], s[12:13]
	s_and_saveexec_b64 s[12:13], s[14:15]
	s_cbranch_execz .LBB19_21
; %bb.20:
	v_bcnt_u32_b32 v4, v4, 0
	v_bcnt_u32_b32 v4, v5, v4
	s_waitcnt lgkmcnt(0)
	v_add_u32_e32 v4, v25, v4
	ds_write_b32 v26, v4 offset:64
.LBB19_21:
	s_or_b64 exec, exec, s[12:13]
	v_mov_b32_e32 v32, 0xffff8000
	v_cmp_lt_i16_e64 s[12:13], -1, v20
	v_mov_b32_e32 v5, 0
	s_nop 0
	v_cndmask_b32_e64 v4, -1, v32, s[12:13]
	v_xor_b32_e32 v20, v4, v20
	v_cmp_ne_u16_e64 s[12:13], s16, v20
	; wave barrier
	s_nop 1
	v_cndmask_b32_e64 v4, v32, v20, s[12:13]
	v_lshrrev_b32_sdwa v4, s48, v4 dst_sel:DWORD dst_unused:UNUSED_PAD src0_sel:DWORD src1_sel:WORD_0
	v_and_b32_e32 v28, s33, v4
	v_mul_u32_u24_e32 v4, 17, v28
	v_add_lshl_u32 v27, v24, v4, 2
	v_and_b32_e32 v4, 1, v28
	v_lshl_add_u64 v[6:7], v[4:5], 0, -1
	v_cmp_ne_u32_e64 s[12:13], 0, v4
	ds_read_b32 v30, v27 offset:64
	s_nop 0
	v_xor_b32_e32 v6, s12, v6
	v_xor_b32_e32 v4, s13, v7
	v_and_b32_e32 v31, exec_lo, v6
	v_lshlrev_b32_e32 v7, 30, v28
	v_mov_b32_e32 v6, v5
	v_cmp_gt_i64_e64 s[12:13], 0, v[6:7]
	v_not_b32_e32 v6, v7
	v_ashrrev_i32_e32 v6, 31, v6
	v_and_b32_e32 v4, exec_hi, v4
	v_xor_b32_e32 v7, s13, v6
	v_xor_b32_e32 v6, s12, v6
	v_and_b32_e32 v4, v4, v7
	v_and_b32_e32 v31, v31, v6
	v_lshlrev_b32_e32 v7, 29, v28
	v_mov_b32_e32 v6, v5
	v_cmp_gt_i64_e64 s[12:13], 0, v[6:7]
	v_not_b32_e32 v6, v7
	v_ashrrev_i32_e32 v6, 31, v6
	v_xor_b32_e32 v7, s13, v6
	v_xor_b32_e32 v6, s12, v6
	v_and_b32_e32 v4, v4, v7
	v_and_b32_e32 v31, v31, v6
	v_lshlrev_b32_e32 v7, 28, v28
	v_mov_b32_e32 v6, v5
	v_cmp_gt_i64_e64 s[12:13], 0, v[6:7]
	v_not_b32_e32 v6, v7
	v_ashrrev_i32_e32 v6, 31, v6
	;; [unrolled: 9-line block ×6, first 2 shown]
	v_xor_b32_e32 v7, s13, v6
	v_xor_b32_e32 v6, s12, v6
	v_and_b32_e32 v6, v31, v6
	v_and_b32_e32 v7, v4, v7
	v_mbcnt_lo_u32_b32 v4, v6, 0
	v_mbcnt_hi_u32_b32 v31, v7, v4
	v_cmp_eq_u32_e64 s[12:13], 0, v31
	v_cmp_ne_u64_e64 s[14:15], 0, v[6:7]
	s_and_b64 s[14:15], s[14:15], s[12:13]
	; wave barrier
	s_and_saveexec_b64 s[12:13], s[14:15]
	s_cbranch_execz .LBB19_23
; %bb.22:
	v_bcnt_u32_b32 v4, v6, 0
	v_bcnt_u32_b32 v4, v7, v4
	s_waitcnt lgkmcnt(0)
	v_add_u32_e32 v4, v30, v4
	ds_write_b32 v27, v4 offset:64
.LBB19_23:
	s_or_b64 exec, exec, s[12:13]
	v_cmp_lt_i16_e64 s[12:13], -1, v15
	; wave barrier
	s_nop 1
	v_cndmask_b32_e64 v4, -1, v32, s[12:13]
	v_xor_b32_e32 v15, v4, v15
	v_cmp_ne_u16_e64 s[12:13], s16, v15
	v_add_u32_e32 v28, 64, v8
	s_nop 0
	v_cndmask_b32_e64 v4, v32, v15, s[12:13]
	v_lshrrev_b32_sdwa v4, s48, v4 dst_sel:DWORD dst_unused:UNUSED_PAD src0_sel:DWORD src1_sel:WORD_0
	v_and_b32_e32 v33, s33, v4
	v_mul_u32_u24_e32 v4, 17, v33
	v_add_lshl_u32 v24, v4, v24, 2
	v_and_b32_e32 v4, 1, v33
	v_lshl_add_u64 v[6:7], v[4:5], 0, -1
	v_cmp_ne_u32_e64 s[12:13], 0, v4
	ds_read_b32 v32, v24 offset:64
	s_nop 0
	v_xor_b32_e32 v6, s12, v6
	v_xor_b32_e32 v4, s13, v7
	v_and_b32_e32 v34, exec_lo, v6
	v_lshlrev_b32_e32 v7, 30, v33
	v_mov_b32_e32 v6, v5
	v_cmp_gt_i64_e64 s[12:13], 0, v[6:7]
	v_not_b32_e32 v6, v7
	v_ashrrev_i32_e32 v6, 31, v6
	v_and_b32_e32 v4, exec_hi, v4
	v_xor_b32_e32 v7, s13, v6
	v_xor_b32_e32 v6, s12, v6
	v_and_b32_e32 v4, v4, v7
	v_and_b32_e32 v34, v34, v6
	v_lshlrev_b32_e32 v7, 29, v33
	v_mov_b32_e32 v6, v5
	v_cmp_gt_i64_e64 s[12:13], 0, v[6:7]
	v_not_b32_e32 v6, v7
	v_ashrrev_i32_e32 v6, 31, v6
	v_xor_b32_e32 v7, s13, v6
	v_xor_b32_e32 v6, s12, v6
	v_and_b32_e32 v4, v4, v7
	v_and_b32_e32 v34, v34, v6
	v_lshlrev_b32_e32 v7, 28, v33
	v_mov_b32_e32 v6, v5
	v_cmp_gt_i64_e64 s[12:13], 0, v[6:7]
	v_not_b32_e32 v6, v7
	v_ashrrev_i32_e32 v6, 31, v6
	;; [unrolled: 9-line block ×5, first 2 shown]
	v_xor_b32_e32 v7, s13, v6
	v_xor_b32_e32 v6, s12, v6
	v_and_b32_e32 v4, v4, v7
	v_lshlrev_b32_e32 v7, 24, v33
	v_and_b32_e32 v34, v34, v6
	v_mov_b32_e32 v6, v5
	v_not_b32_e32 v5, v7
	v_cmp_gt_i64_e64 s[12:13], 0, v[6:7]
	v_ashrrev_i32_e32 v5, 31, v5
	; wave barrier
	s_nop 0
	v_xor_b32_e32 v6, s13, v5
	v_xor_b32_e32 v7, s12, v5
	v_and_b32_e32 v5, v4, v6
	v_and_b32_e32 v4, v34, v7
	v_mbcnt_lo_u32_b32 v6, v4, 0
	v_mbcnt_hi_u32_b32 v33, v5, v6
	v_cmp_eq_u32_e64 s[12:13], 0, v33
	v_cmp_ne_u64_e64 s[14:15], 0, v[4:5]
	s_and_b64 s[14:15], s[14:15], s[12:13]
	s_and_saveexec_b64 s[12:13], s[14:15]
	s_cbranch_execz .LBB19_25
; %bb.24:
	v_bcnt_u32_b32 v4, v4, 0
	v_bcnt_u32_b32 v4, v5, v4
	s_waitcnt lgkmcnt(0)
	v_add_u32_e32 v4, v32, v4
	ds_write_b32 v24, v4 offset:64
.LBB19_25:
	s_or_b64 exec, exec, s[12:13]
	; wave barrier
	s_waitcnt lgkmcnt(0)
	s_barrier
	ds_read2_b32 v[6:7], v8 offset0:16 offset1:17
	ds_read2_b32 v[4:5], v28 offset0:2 offset1:3
	ds_read_b32 v34, v28 offset:16
	v_cmp_lt_u32_e64 s[20:21], 31, v14
	s_waitcnt lgkmcnt(1)
	v_add3_u32 v35, v7, v6, v4
	s_waitcnt lgkmcnt(0)
	v_add3_u32 v34, v35, v5, v34
	v_and_b32_e32 v35, 15, v14
	v_cmp_eq_u32_e64 s[12:13], 0, v35
	v_mov_b32_dpp v36, v34 row_shr:1 row_mask:0xf bank_mask:0xf
	v_cmp_lt_u32_e64 s[14:15], 1, v35
	v_cndmask_b32_e64 v36, v36, 0, s[12:13]
	v_add_u32_e32 v34, v36, v34
	v_cmp_lt_u32_e64 s[16:17], 3, v35
	v_cmp_lt_u32_e64 s[18:19], 7, v35
	v_mov_b32_dpp v36, v34 row_shr:2 row_mask:0xf bank_mask:0xf
	v_cndmask_b32_e64 v36, 0, v36, s[14:15]
	v_add_u32_e32 v34, v34, v36
	s_nop 1
	v_mov_b32_dpp v36, v34 row_shr:4 row_mask:0xf bank_mask:0xf
	v_cndmask_b32_e64 v36, 0, v36, s[16:17]
	v_add_u32_e32 v34, v34, v36
	s_nop 1
	v_mov_b32_dpp v36, v34 row_shr:8 row_mask:0xf bank_mask:0xf
	v_cndmask_b32_e64 v35, 0, v36, s[18:19]
	v_add_u32_e32 v34, v34, v35
	v_bfe_i32 v36, v14, 4, 1
	s_nop 0
	v_mov_b32_dpp v35, v34 row_bcast:15 row_mask:0xf bank_mask:0xf
	v_and_b32_e32 v35, v36, v35
	v_add_u32_e32 v34, v34, v35
	v_and_b32_e32 v36, 63, v2
	s_nop 0
	v_mov_b32_dpp v35, v34 row_bcast:31 row_mask:0xf bank_mask:0xf
	v_cndmask_b32_e64 v35, 0, v35, s[20:21]
	v_add_u32_e32 v34, v34, v35
	v_lshrrev_b32_e32 v35, 6, v2
	v_cmp_eq_u32_e64 s[20:21], 63, v36
	s_and_saveexec_b64 s[22:23], s[20:21]
	s_cbranch_execz .LBB19_27
; %bb.26:
	v_lshlrev_b32_e32 v36, 2, v35
	ds_write_b32 v36, v34
.LBB19_27:
	s_or_b64 exec, exec, s[22:23]
	v_cmp_gt_u32_e64 s[20:21], 16, v2
	s_waitcnt lgkmcnt(0)
	s_barrier
	s_and_saveexec_b64 s[22:23], s[20:21]
	s_cbranch_execz .LBB19_29
; %bb.28:
	v_lshlrev_b32_e32 v36, 2, v2
	ds_read_b32 v37, v36
	s_waitcnt lgkmcnt(0)
	s_nop 0
	v_mov_b32_dpp v38, v37 row_shr:1 row_mask:0xf bank_mask:0xf
	v_cndmask_b32_e64 v38, v38, 0, s[12:13]
	v_add_u32_e32 v37, v38, v37
	s_nop 1
	v_mov_b32_dpp v38, v37 row_shr:2 row_mask:0xf bank_mask:0xf
	v_cndmask_b32_e64 v38, 0, v38, s[14:15]
	v_add_u32_e32 v37, v37, v38
	;; [unrolled: 4-line block ×4, first 2 shown]
	ds_write_b32 v36, v37
.LBB19_29:
	s_or_b64 exec, exec, s[22:23]
	v_cmp_lt_u32_e64 s[12:13], 63, v2
	v_mov_b32_e32 v36, 0
	s_waitcnt lgkmcnt(0)
	s_barrier
	s_and_saveexec_b64 s[14:15], s[12:13]
	s_cbranch_execz .LBB19_31
; %bb.30:
	v_lshl_add_u32 v35, v35, 2, -4
	ds_read_b32 v36, v35
.LBB19_31:
	s_or_b64 exec, exec, s[14:15]
	v_add_u32_e32 v35, -1, v14
	v_and_b32_e32 v37, 64, v14
	v_cmp_lt_i32_e64 s[12:13], v35, v37
	s_waitcnt lgkmcnt(0)
	v_add_u32_e32 v34, v36, v34
	v_cndmask_b32_e64 v35, v35, v14, s[12:13]
	v_lshlrev_b32_e32 v35, 2, v35
	ds_bpermute_b32 v34, v35, v34
	v_cmp_eq_u32_e64 s[12:13], 0, v14
	s_waitcnt lgkmcnt(0)
	s_nop 0
	v_cndmask_b32_e64 v34, v34, v36, s[12:13]
	v_cmp_ne_u32_e64 s[12:13], 0, v2
	s_nop 1
	v_cndmask_b32_e64 v34, 0, v34, s[12:13]
	v_add_u32_e32 v6, v34, v6
	v_add_u32_e32 v7, v6, v7
	;; [unrolled: 1-line block ×4, first 2 shown]
	ds_write2_b32 v8, v34, v6 offset0:16 offset1:17
	ds_write2_b32 v28, v7, v4 offset0:2 offset1:3
	ds_write_b32 v28, v5 offset:16
	s_waitcnt lgkmcnt(0)
	s_barrier
	ds_read_b32 v7, v13 offset:64
	ds_read_b32 v8, v16 offset:64
	;; [unrolled: 1-line block ×6, first 2 shown]
	s_movk_i32 s12, 0x100
	v_cmp_gt_u32_e64 s[12:13], s12, v2
	v_mov_b64_e32 v[4:5], 0
                                        ; implicit-def: $vgpr6
	s_and_saveexec_b64 s[16:17], s[12:13]
	s_cbranch_execz .LBB19_35
; %bb.32:
	v_mul_u32_u24_e32 v4, 17, v2
	v_lshlrev_b32_e32 v6, 2, v4
	ds_read_b32 v4, v6 offset:64
	s_movk_i32 s14, 0xff
	v_cmp_ne_u32_e64 s[14:15], s14, v2
	v_mov_b32_e32 v5, 0x1800
	s_and_saveexec_b64 s[18:19], s[14:15]
	s_cbranch_execz .LBB19_34
; %bb.33:
	ds_read_b32 v5, v6 offset:132
.LBB19_34:
	s_or_b64 exec, exec, s[18:19]
	s_waitcnt lgkmcnt(0)
	v_sub_u32_e32 v6, v5, v4
	v_mov_b32_e32 v5, 0
.LBB19_35:
	s_or_b64 exec, exec, s[16:17]
	s_waitcnt lgkmcnt(5)
	v_add_u32_e32 v28, v7, v10
	s_waitcnt lgkmcnt(4)
	v_add3_u32 v27, v17, v12, v8
	v_lshlrev_b32_e32 v8, 1, v28
	s_waitcnt lgkmcnt(3)
	v_add3_u32 v26, v22, v19, v13
	s_waitcnt lgkmcnt(0)
	s_barrier
	ds_write_b16 v8, v9 offset:2048
	v_lshlrev_b32_e32 v8, 1, v27
	v_add3_u32 v25, v29, v25, v16
	ds_write_b16 v8, v11 offset:2048
	v_lshlrev_b32_e32 v8, 1, v26
	v_add3_u32 v24, v31, v30, v21
	;; [unrolled: 3-line block ×3, first 2 shown]
	ds_write_b16 v8, v23 offset:2048
	v_lshlrev_b32_e32 v8, 1, v24
	ds_write_b16 v8, v20 offset:2048
	v_lshlrev_b32_e32 v8, 1, v7
	ds_write_b16 v8, v15 offset:2048
	s_waitcnt lgkmcnt(0)
	s_barrier
	s_and_saveexec_b64 s[16:17], s[12:13]
	s_cbranch_execz .LBB19_45
; %bb.36:
	v_lshl_or_b32 v10, s2, 8, v2
	v_mov_b32_e32 v11, 0
	v_lshl_add_u64 v[8:9], v[10:11], 2, s[34:35]
	v_or_b32_e32 v10, 2.0, v6
	s_mov_b64 s[18:19], 0
	s_brev_b32 s24, 1
	s_mov_b32 s25, s2
	v_mov_b32_e32 v15, 0
	global_store_dword v[8:9], v10, off sc1
                                        ; implicit-def: $sgpr14_sgpr15
	s_branch .LBB19_38
.LBB19_37:                              ;   in Loop: Header=BB19_38 Depth=1
	s_or_b64 exec, exec, s[20:21]
	v_and_b32_e32 v12, 0x3fffffff, v16
	v_add_u32_e32 v15, v12, v15
	v_cmp_eq_u32_e64 s[14:15], s24, v10
	s_and_b64 s[20:21], exec, s[14:15]
	s_or_b64 s[18:19], s[20:21], s[18:19]
	s_andn2_b64 exec, exec, s[18:19]
	s_cbranch_execz .LBB19_44
.LBB19_38:                              ; =>This Loop Header: Depth=1
                                        ;     Child Loop BB19_41 Depth 2
	s_or_b64 s[14:15], s[14:15], exec
	s_cmp_eq_u32 s25, 0
	s_cbranch_scc1 .LBB19_43
; %bb.39:                               ;   in Loop: Header=BB19_38 Depth=1
	s_add_i32 s25, s25, -1
	v_lshl_or_b32 v10, s25, 8, v2
	v_lshl_add_u64 v[12:13], v[10:11], 2, s[34:35]
	global_load_dword v16, v[12:13], off sc1
	s_waitcnt vmcnt(0)
	v_and_b32_e32 v10, -2.0, v16
	v_cmp_eq_u32_e64 s[14:15], 0, v10
	s_and_saveexec_b64 s[20:21], s[14:15]
	s_cbranch_execz .LBB19_37
; %bb.40:                               ;   in Loop: Header=BB19_38 Depth=1
	s_mov_b64 s[22:23], 0
.LBB19_41:                              ;   Parent Loop BB19_38 Depth=1
                                        ; =>  This Inner Loop Header: Depth=2
	global_load_dword v16, v[12:13], off sc1
	s_waitcnt vmcnt(0)
	v_and_b32_e32 v10, -2.0, v16
	v_cmp_ne_u32_e64 s[14:15], 0, v10
	s_or_b64 s[22:23], s[14:15], s[22:23]
	s_andn2_b64 exec, exec, s[22:23]
	s_cbranch_execnz .LBB19_41
; %bb.42:                               ;   in Loop: Header=BB19_38 Depth=1
	s_or_b64 exec, exec, s[22:23]
	s_branch .LBB19_37
.LBB19_43:                              ;   in Loop: Header=BB19_38 Depth=1
                                        ; implicit-def: $sgpr25
	s_and_b64 s[20:21], exec, s[14:15]
	s_or_b64 s[18:19], s[20:21], s[18:19]
	s_andn2_b64 exec, exec, s[18:19]
	s_cbranch_execnz .LBB19_38
.LBB19_44:
	s_or_b64 exec, exec, s[18:19]
	v_add_u32_e32 v10, v15, v6
	v_or_b32_e32 v10, 0x80000000, v10
	global_store_dword v[8:9], v10, off sc1
	v_lshlrev_b32_e32 v12, 3, v2
	global_load_dwordx2 v[8:9], v12, s[44:45]
	v_sub_co_u32_e64 v10, s[14:15], v15, v4
	s_nop 1
	v_subb_co_u32_e64 v11, s[14:15], 0, v5, s[14:15]
	s_waitcnt vmcnt(0)
	v_lshl_add_u64 v[8:9], v[10:11], 0, v[8:9]
	ds_write_b64 v12, v[8:9]
.LBB19_45:
	s_or_b64 exec, exec, s[16:17]
	v_cmp_gt_u32_e64 s[14:15], s50, v2
	v_lshlrev_b32_e32 v8, 1, v2
	s_waitcnt lgkmcnt(0)
	s_barrier
	s_and_saveexec_b64 s[18:19], s[14:15]
	s_cbranch_execz .LBB19_47
; %bb.46:
	ds_read_u16 v9, v8 offset:2048
	s_movk_i32 s16, 0x7fff
	v_mov_b32_e32 v12, 0xffff8000
	s_waitcnt lgkmcnt(0)
	v_cmp_ne_u16_e64 s[16:17], s16, v9
	s_nop 1
	v_cndmask_b32_e64 v10, v12, v9, s[16:17]
	v_lshrrev_b32_sdwa v10, s48, v10 dst_sel:DWORD dst_unused:UNUSED_PAD src0_sel:DWORD src1_sel:WORD_0
	v_and_b32_e32 v10, s33, v10
	v_lshlrev_b32_e32 v10, 3, v10
	ds_read_b64 v[10:11], v10
	v_cmp_lt_i16_e64 s[16:17], -1, v9
	s_waitcnt lgkmcnt(0)
	v_lshl_add_u64 v[10:11], v[10:11], 1, s[38:39]
	v_cndmask_b32_e64 v12, v12, -1, s[16:17]
	v_xor_b32_e32 v12, v12, v9
	v_mov_b32_e32 v9, 0
	v_lshl_add_u64 v[10:11], v[10:11], 0, v[8:9]
	global_store_short v[10:11], v12, off
.LBB19_47:
	s_or_b64 exec, exec, s[18:19]
	v_or_b32_e32 v29, 0x400, v2
	v_cmp_gt_u32_e64 s[16:17], s50, v29
	s_and_saveexec_b64 s[20:21], s[16:17]
	s_cbranch_execz .LBB19_49
; %bb.48:
	ds_read_u16 v9, v8 offset:4096
	s_movk_i32 s18, 0x7fff
	v_mov_b32_e32 v12, 0xffff8000
	s_waitcnt lgkmcnt(0)
	v_cmp_ne_u16_e64 s[18:19], s18, v9
	s_nop 1
	v_cndmask_b32_e64 v10, v12, v9, s[18:19]
	v_lshrrev_b32_sdwa v10, s48, v10 dst_sel:DWORD dst_unused:UNUSED_PAD src0_sel:DWORD src1_sel:WORD_0
	v_and_b32_e32 v10, s33, v10
	v_lshlrev_b32_e32 v10, 3, v10
	ds_read_b64 v[10:11], v10
	v_cmp_lt_i16_e64 s[18:19], -1, v9
	s_waitcnt lgkmcnt(0)
	v_lshl_add_u64 v[10:11], v[10:11], 1, s[38:39]
	v_cndmask_b32_e64 v12, v12, -1, s[18:19]
	v_xor_b32_e32 v12, v12, v9
	v_mov_b32_e32 v9, 0
	v_lshl_add_u64 v[10:11], v[10:11], 0, v[8:9]
	global_store_short v[10:11], v12, off offset:2048
.LBB19_49:
	s_or_b64 exec, exec, s[20:21]
	v_or_b32_e32 v30, 0x800, v2
	v_cmp_gt_u32_e64 s[18:19], s50, v30
	s_and_saveexec_b64 s[22:23], s[18:19]
	s_cbranch_execz .LBB19_51
; %bb.50:
	ds_read_u16 v9, v8 offset:6144
	s_movk_i32 s20, 0x7fff
	v_mov_b32_e32 v13, 0xffff8000
	v_lshlrev_b32_e32 v12, 1, v30
	s_waitcnt lgkmcnt(0)
	v_cmp_ne_u16_e64 s[20:21], s20, v9
	s_nop 1
	v_cndmask_b32_e64 v10, v13, v9, s[20:21]
	v_lshrrev_b32_sdwa v10, s48, v10 dst_sel:DWORD dst_unused:UNUSED_PAD src0_sel:DWORD src1_sel:WORD_0
	v_and_b32_e32 v10, s33, v10
	v_lshlrev_b32_e32 v10, 3, v10
	ds_read_b64 v[10:11], v10
	v_cmp_lt_i16_e64 s[20:21], -1, v9
	s_waitcnt lgkmcnt(0)
	v_lshl_add_u64 v[10:11], v[10:11], 1, s[38:39]
	v_cndmask_b32_e64 v13, v13, -1, s[20:21]
	v_xor_b32_e32 v9, v13, v9
	v_mov_b32_e32 v13, 0
	v_lshl_add_u64 v[10:11], v[10:11], 0, v[12:13]
	global_store_short v[10:11], v9, off
.LBB19_51:
	s_or_b64 exec, exec, s[22:23]
	v_or_b32_e32 v31, 0xc00, v2
	v_cmp_gt_u32_e64 s[20:21], s50, v31
	s_and_saveexec_b64 s[24:25], s[20:21]
	s_cbranch_execz .LBB19_53
; %bb.52:
	ds_read_u16 v9, v8 offset:8192
	s_movk_i32 s22, 0x7fff
	v_mov_b32_e32 v13, 0xffff8000
	v_lshlrev_b32_e32 v12, 1, v31
	s_waitcnt lgkmcnt(0)
	v_cmp_ne_u16_e64 s[22:23], s22, v9
	s_nop 1
	v_cndmask_b32_e64 v10, v13, v9, s[22:23]
	v_lshrrev_b32_sdwa v10, s48, v10 dst_sel:DWORD dst_unused:UNUSED_PAD src0_sel:DWORD src1_sel:WORD_0
	v_and_b32_e32 v10, s33, v10
	v_lshlrev_b32_e32 v10, 3, v10
	ds_read_b64 v[10:11], v10
	v_cmp_lt_i16_e64 s[22:23], -1, v9
	s_waitcnt lgkmcnt(0)
	v_lshl_add_u64 v[10:11], v[10:11], 1, s[38:39]
	v_cndmask_b32_e64 v13, v13, -1, s[22:23]
	v_xor_b32_e32 v9, v13, v9
	v_mov_b32_e32 v13, 0
	v_lshl_add_u64 v[10:11], v[10:11], 0, v[12:13]
	global_store_short v[10:11], v9, off
.LBB19_53:
	s_or_b64 exec, exec, s[24:25]
	v_or_b32_e32 v32, 0x1000, v2
	v_cmp_gt_u32_e64 s[22:23], s50, v32
	s_and_saveexec_b64 s[28:29], s[22:23]
	s_cbranch_execz .LBB19_55
; %bb.54:
	ds_read_u16 v9, v8 offset:10240
	s_movk_i32 s24, 0x7fff
	v_mov_b32_e32 v13, 0xffff8000
	v_lshlrev_b32_e32 v12, 1, v32
	s_waitcnt lgkmcnt(0)
	v_cmp_ne_u16_e64 s[24:25], s24, v9
	s_nop 1
	v_cndmask_b32_e64 v10, v13, v9, s[24:25]
	v_lshrrev_b32_sdwa v10, s48, v10 dst_sel:DWORD dst_unused:UNUSED_PAD src0_sel:DWORD src1_sel:WORD_0
	v_and_b32_e32 v10, s33, v10
	v_lshlrev_b32_e32 v10, 3, v10
	ds_read_b64 v[10:11], v10
	v_cmp_lt_i16_e64 s[24:25], -1, v9
	s_waitcnt lgkmcnt(0)
	v_lshl_add_u64 v[10:11], v[10:11], 1, s[38:39]
	v_cndmask_b32_e64 v13, v13, -1, s[24:25]
	v_xor_b32_e32 v9, v13, v9
	v_mov_b32_e32 v13, 0
	v_lshl_add_u64 v[10:11], v[10:11], 0, v[12:13]
	global_store_short v[10:11], v9, off
.LBB19_55:
	s_or_b64 exec, exec, s[28:29]
	v_or_b32_e32 v33, 0x1400, v2
	v_cmp_gt_u32_e64 s[24:25], s50, v33
	s_and_saveexec_b64 s[50:51], s[24:25]
	s_cbranch_execz .LBB19_57
; %bb.56:
	ds_read_u16 v9, v8 offset:12288
	s_movk_i32 s28, 0x7fff
	v_mov_b32_e32 v13, 0xffff8000
	v_lshlrev_b32_e32 v12, 1, v33
	s_waitcnt lgkmcnt(0)
	v_cmp_ne_u16_e64 s[28:29], s28, v9
	s_nop 1
	v_cndmask_b32_e64 v10, v13, v9, s[28:29]
	v_lshrrev_b32_sdwa v10, s48, v10 dst_sel:DWORD dst_unused:UNUSED_PAD src0_sel:DWORD src1_sel:WORD_0
	v_and_b32_e32 v10, s33, v10
	v_lshlrev_b32_e32 v10, 3, v10
	ds_read_b64 v[10:11], v10
	v_cmp_lt_i16_e64 s[28:29], -1, v9
	s_waitcnt lgkmcnt(0)
	v_lshl_add_u64 v[10:11], v[10:11], 1, s[38:39]
	v_cndmask_b32_e64 v13, v13, -1, s[28:29]
	v_xor_b32_e32 v9, v13, v9
	v_mov_b32_e32 v13, 0
	v_lshl_add_u64 v[10:11], v[10:11], 0, v[12:13]
	global_store_short v[10:11], v9, off
.LBB19_57:
	s_or_b64 exec, exec, s[50:51]
	s_lshl_b64 s[28:29], s[30:31], 3
	s_add_u32 s28, s40, s28
	s_addc_u32 s29, s41, s29
	v_lshlrev_b32_e32 v10, 3, v14
	v_mov_b32_e32 v11, 0
	v_lshl_add_u64 v[12:13], s[28:29], 0, v[10:11]
	v_lshlrev_b32_e32 v10, 3, v3
	v_lshl_add_u64 v[22:23], v[12:13], 0, v[10:11]
                                        ; implicit-def: $vgpr10_vgpr11
	s_and_saveexec_b64 s[28:29], vcc
	s_xor_b64 s[28:29], exec, s[28:29]
	s_cbranch_execnz .LBB19_127
; %bb.58:
	s_or_b64 exec, exec, s[28:29]
                                        ; implicit-def: $vgpr12_vgpr13
	s_and_saveexec_b64 s[28:29], s[26:27]
	s_cbranch_execnz .LBB19_128
.LBB19_59:
	s_or_b64 exec, exec, s[28:29]
                                        ; implicit-def: $vgpr14_vgpr15
	s_and_saveexec_b64 s[26:27], s[4:5]
	s_cbranch_execnz .LBB19_129
.LBB19_60:
	s_or_b64 exec, exec, s[26:27]
                                        ; implicit-def: $vgpr16_vgpr17
	s_and_saveexec_b64 s[4:5], s[6:7]
	s_cbranch_execnz .LBB19_130
.LBB19_61:
	s_or_b64 exec, exec, s[4:5]
                                        ; implicit-def: $vgpr18_vgpr19
	s_and_saveexec_b64 s[4:5], s[8:9]
	s_cbranch_execnz .LBB19_131
.LBB19_62:
	s_or_b64 exec, exec, s[4:5]
                                        ; implicit-def: $vgpr20_vgpr21
	s_and_saveexec_b64 s[4:5], s[10:11]
	s_cbranch_execz .LBB19_64
.LBB19_63:
	global_load_dwordx2 v[20:21], v[22:23], off offset:2560
.LBB19_64:
	s_or_b64 exec, exec, s[4:5]
	v_mov_b32_e32 v23, 0
	v_mov_b32_e32 v9, 0
	s_and_saveexec_b64 s[4:5], s[14:15]
	s_cbranch_execz .LBB19_66
; %bb.65:
	ds_read_u16 v3, v8 offset:2048
	s_movk_i32 s6, 0x7fff
	v_mov_b32_e32 v9, 0xffff8000
	s_waitcnt lgkmcnt(0)
	v_cmp_ne_u16_e32 vcc, s6, v3
	s_nop 1
	v_cndmask_b32_e32 v3, v9, v3, vcc
	v_lshrrev_b32_sdwa v3, s48, v3 dst_sel:DWORD dst_unused:UNUSED_PAD src0_sel:DWORD src1_sel:WORD_0
	v_and_b32_e32 v9, s33, v3
.LBB19_66:
	s_or_b64 exec, exec, s[4:5]
	s_and_saveexec_b64 s[4:5], s[16:17]
	s_cbranch_execz .LBB19_68
; %bb.67:
	ds_read_u16 v3, v8 offset:4096
	s_movk_i32 s6, 0x7fff
	v_mov_b32_e32 v22, 0xffff8000
	s_waitcnt lgkmcnt(0)
	v_cmp_ne_u16_e32 vcc, s6, v3
	s_nop 1
	v_cndmask_b32_e32 v3, v22, v3, vcc
	v_lshrrev_b32_sdwa v3, s48, v3 dst_sel:DWORD dst_unused:UNUSED_PAD src0_sel:DWORD src1_sel:WORD_0
	v_and_b32_e32 v23, s33, v3
.LBB19_68:
	s_or_b64 exec, exec, s[4:5]
	v_mov_b32_e32 v22, 0
	v_mov_b32_e32 v35, 0
	s_and_saveexec_b64 s[4:5], s[18:19]
	s_cbranch_execz .LBB19_70
; %bb.69:
	ds_read_u16 v3, v8 offset:6144
	s_movk_i32 s6, 0x7fff
	v_mov_b32_e32 v34, 0xffff8000
	s_waitcnt lgkmcnt(0)
	v_cmp_ne_u16_e32 vcc, s6, v3
	s_nop 1
	v_cndmask_b32_e32 v3, v34, v3, vcc
	v_lshrrev_b32_sdwa v3, s48, v3 dst_sel:DWORD dst_unused:UNUSED_PAD src0_sel:DWORD src1_sel:WORD_0
	v_and_b32_e32 v35, s33, v3
.LBB19_70:
	s_or_b64 exec, exec, s[4:5]
	s_and_saveexec_b64 s[4:5], s[20:21]
	s_cbranch_execz .LBB19_72
; %bb.71:
	ds_read_u16 v3, v8 offset:8192
	s_movk_i32 s6, 0x7fff
	v_mov_b32_e32 v22, 0xffff8000
	s_waitcnt lgkmcnt(0)
	v_cmp_ne_u16_e32 vcc, s6, v3
	s_nop 1
	v_cndmask_b32_e32 v3, v22, v3, vcc
	v_lshrrev_b32_sdwa v3, s48, v3 dst_sel:DWORD dst_unused:UNUSED_PAD src0_sel:DWORD src1_sel:WORD_0
	v_and_b32_e32 v22, s33, v3
.LBB19_72:
	;; [unrolled: 30-line block ×3, first 2 shown]
	s_or_b64 exec, exec, s[4:5]
	v_lshlrev_b32_e32 v8, 3, v28
	s_barrier
	s_waitcnt vmcnt(0)
	ds_write_b64 v8, v[10:11] offset:2048
	v_lshlrev_b32_e32 v8, 3, v27
	ds_write_b64 v8, v[12:13] offset:2048
	v_lshlrev_b32_e32 v8, 3, v26
	ds_write_b64 v8, v[14:15] offset:2048
	v_lshlrev_b32_e32 v8, 3, v25
	ds_write_b64 v8, v[16:17] offset:2048
	v_lshlrev_b32_e32 v8, 3, v24
	ds_write_b64 v8, v[18:19] offset:2048
	v_lshlrev_b32_e32 v7, 3, v7
	v_lshlrev_b32_e32 v8, 3, v2
	ds_write_b64 v7, v[20:21] offset:2048
	s_waitcnt lgkmcnt(0)
	s_barrier
	s_and_saveexec_b64 s[4:5], s[14:15]
	s_cbranch_execnz .LBB19_132
; %bb.77:
	s_or_b64 exec, exec, s[4:5]
	s_and_saveexec_b64 s[4:5], s[16:17]
	s_cbranch_execnz .LBB19_133
.LBB19_78:
	s_or_b64 exec, exec, s[4:5]
	s_and_saveexec_b64 s[4:5], s[18:19]
	s_cbranch_execnz .LBB19_134
.LBB19_79:
	s_or_b64 exec, exec, s[4:5]
	s_and_saveexec_b64 s[4:5], s[20:21]
	s_cbranch_execnz .LBB19_135
.LBB19_80:
	s_or_b64 exec, exec, s[4:5]
	s_and_saveexec_b64 s[4:5], s[22:23]
	s_cbranch_execnz .LBB19_136
.LBB19_81:
	s_or_b64 exec, exec, s[4:5]
	s_and_saveexec_b64 s[4:5], s[24:25]
	s_cbranch_execz .LBB19_83
.LBB19_82:
	v_lshlrev_b32_e32 v3, 3, v3
	ds_read_b64 v[10:11], v3
	ds_read_b64 v[8:9], v8 offset:43008
	v_lshlrev_b32_e32 v12, 3, v33
	v_mov_b32_e32 v13, 0
	s_waitcnt lgkmcnt(1)
	v_lshl_add_u64 v[10:11], v[10:11], 3, s[42:43]
	v_lshl_add_u64 v[10:11], v[10:11], 0, v[12:13]
	s_waitcnt lgkmcnt(0)
	global_store_dwordx2 v[10:11], v[8:9], off
.LBB19_83:
	s_or_b64 exec, exec, s[4:5]
	s_add_i32 s3, s3, -1
	s_cmp_eq_u32 s2, s3
	s_cselect_b64 s[4:5], -1, 0
	s_and_b64 s[6:7], s[12:13], s[4:5]
	s_mov_b64 s[4:5], 0
	s_mov_b64 s[10:11], 0
                                        ; implicit-def: $vgpr8_vgpr9
	s_and_saveexec_b64 s[8:9], s[6:7]
	s_xor_b64 s[6:7], exec, s[8:9]
; %bb.84:
	v_mov_b32_e32 v7, 0
	s_mov_b64 s[10:11], exec
	v_lshl_add_u64 v[8:9], v[4:5], 0, v[6:7]
	v_mov_b32_e32 v3, v7
; %bb.85:
	s_or_b64 exec, exec, s[6:7]
	s_and_b64 vcc, exec, s[4:5]
	s_cbranch_vccnz .LBB19_87
	s_branch .LBB19_124
.LBB19_86:
	s_mov_b64 s[10:11], 0
                                        ; implicit-def: $vgpr8_vgpr9
                                        ; implicit-def: $vgpr2_vgpr3
	s_cbranch_execz .LBB19_124
.LBB19_87:
	s_mov_b32 s31, 0
	s_lshl_b64 s[4:5], s[30:31], 1
	v_and_b32_e32 v2, 0x3ff, v0
	s_add_u32 s4, s36, s4
	v_mbcnt_hi_u32_b32 v13, -1, v1
	s_addc_u32 s5, s37, s5
	v_mov_b32_e32 v5, 0
	v_and_b32_e32 v1, 0x3c0, v2
	v_lshlrev_b32_e32 v4, 1, v13
	v_mul_u32_u24_e32 v12, 6, v1
	v_lshl_add_u64 v[6:7], s[4:5], 0, v[4:5]
	s_load_dword s3, s[0:1], 0x50
	s_load_dword s4, s[0:1], 0x5c
	v_lshlrev_b32_e32 v4, 1, v12
	v_lshl_add_u64 v[18:19], v[6:7], 0, v[4:5]
	global_load_ushort v1, v[18:19], off
	s_add_u32 s0, s0, 0x50
	s_addc_u32 s1, s1, 0
	s_waitcnt lgkmcnt(0)
	s_lshr_b32 s4, s4, 16
	s_cmp_lt_u32 s2, s3
	s_cselect_b32 s5, 12, 18
	s_add_u32 s0, s0, s5
	s_addc_u32 s1, s1, 0
	global_load_ushort v4, v5, s[0:1]
	v_mul_u32_u24_e32 v6, 5, v2
	v_lshlrev_b32_e32 v6, 2, v6
	ds_write2_b32 v6, v5, v5 offset0:16 offset1:17
	ds_write2_b32 v6, v5, v5 offset0:18 offset1:19
	ds_write_b32 v6, v5 offset:80
	global_load_ushort v9, v[18:19], off offset:128
	global_load_ushort v15, v[18:19], off offset:256
	;; [unrolled: 1-line block ×5, first 2 shown]
	v_mov_b32_e32 v10, 0xffff8000
	v_bfe_u32 v3, v0, 10, 10
	v_bfe_u32 v7, v0, 20, 10
	v_mad_u32_u24 v7, v7, s4, v3
	s_movk_i32 s12, 0x7fff
	s_lshl_b32 s0, -1, s49
	s_not_b32 s14, s0
	v_mov_b32_e32 v0, v5
	v_mov_b32_e32 v24, v5
	;; [unrolled: 1-line block ×4, first 2 shown]
	s_waitcnt lgkmcnt(0)
	s_barrier
	s_waitcnt lgkmcnt(0)
	; wave barrier
	s_waitcnt vmcnt(6)
	v_cmp_lt_i16_e32 vcc, -1, v1
	s_nop 1
	v_cndmask_b32_e32 v3, -1, v10, vcc
	v_xor_b32_e32 v3, v3, v1
	v_cmp_ne_u16_e32 vcc, s12, v3
	s_waitcnt vmcnt(5)
	v_mad_u64_u32 v[18:19], s[0:1], v7, v4, v[2:3]
	v_cndmask_b32_e32 v1, v10, v3, vcc
	v_lshrrev_b32_sdwa v1, s48, v1 dst_sel:DWORD dst_unused:UNUSED_PAD src0_sel:DWORD src1_sel:WORD_0
	v_and_b32_e32 v8, s14, v1
	v_and_b32_e32 v4, 1, v8
	v_lshlrev_b32_e32 v1, 30, v8
	v_lshlrev_b32_e32 v25, 29, v8
	v_lshl_add_u64 v[30:31], v[4:5], 0, -1
	v_cmp_ne_u32_e32 vcc, 0, v4
	v_cmp_gt_i64_e64 s[0:1], 0, v[0:1]
	v_not_b32_e32 v0, v1
	v_lshlrev_b32_e32 v27, 28, v8
	v_not_b32_e32 v1, v25
	v_xor_b32_e32 v14, vcc_hi, v31
	v_xor_b32_e32 v16, vcc_lo, v30
	v_ashrrev_i32_e32 v0, 31, v0
	v_lshlrev_b32_e32 v29, 27, v8
	v_cmp_gt_i64_e64 s[4:5], 0, v[24:25]
	v_not_b32_e32 v4, v27
	v_ashrrev_i32_e32 v1, 31, v1
	v_and_b32_e32 v14, exec_hi, v14
	v_and_b32_e32 v16, exec_lo, v16
	v_xor_b32_e32 v19, s1, v0
	v_xor_b32_e32 v0, s0, v0
	v_cmp_gt_i64_e64 s[6:7], 0, v[26:27]
	v_not_b32_e32 v11, v29
	v_ashrrev_i32_e32 v4, 31, v4
	v_xor_b32_e32 v20, s5, v1
	v_xor_b32_e32 v1, s4, v1
	v_and_b32_e32 v14, v14, v19
	v_and_b32_e32 v0, v16, v0
	v_cmp_gt_i64_e64 s[8:9], 0, v[28:29]
	v_ashrrev_i32_e32 v11, 31, v11
	v_xor_b32_e32 v22, s7, v4
	v_xor_b32_e32 v4, s6, v4
	v_and_b32_e32 v14, v14, v20
	v_and_b32_e32 v0, v0, v1
	v_xor_b32_e32 v24, s9, v11
	v_xor_b32_e32 v11, s8, v11
	v_and_b32_e32 v1, v14, v22
	v_and_b32_e32 v0, v0, v4
	;; [unrolled: 1-line block ×4, first 2 shown]
	v_lshlrev_b32_e32 v1, 26, v8
	v_mov_b32_e32 v0, v5
	v_cmp_gt_i64_e32 vcc, 0, v[0:1]
	v_not_b32_e32 v0, v1
	v_ashrrev_i32_e32 v0, 31, v0
	v_xor_b32_e32 v1, vcc_hi, v0
	v_xor_b32_e32 v0, vcc_lo, v0
	v_and_b32_e32 v4, v4, v1
	v_and_b32_e32 v11, v11, v0
	v_lshlrev_b32_e32 v1, 25, v8
	v_mov_b32_e32 v0, v5
	v_cmp_gt_i64_e32 vcc, 0, v[0:1]
	v_not_b32_e32 v0, v1
	v_ashrrev_i32_e32 v0, 31, v0
	v_xor_b32_e32 v1, vcc_hi, v0
	v_xor_b32_e32 v0, vcc_lo, v0
	v_and_b32_e32 v4, v4, v1
	v_and_b32_e32 v11, v11, v0
	;; [unrolled: 9-line block ×3, first 2 shown]
	v_mbcnt_lo_u32_b32 v4, v0, 0
	v_mul_u32_u24_e32 v7, 17, v8
	v_mbcnt_hi_u32_b32 v8, v1, v4
	v_lshrrev_b32_e32 v18, 6, v18
	v_cmp_eq_u32_e32 vcc, 0, v8
	v_cmp_ne_u64_e64 s[0:1], 0, v[0:1]
	v_add_lshl_u32 v7, v18, v7, 2
	s_and_b64 s[4:5], s[0:1], vcc
	s_and_saveexec_b64 s[0:1], s[4:5]
	s_cbranch_execz .LBB19_89
; %bb.88:
	v_bcnt_u32_b32 v0, v0, 0
	v_bcnt_u32_b32 v0, v1, v0
	ds_write_b32 v7, v0 offset:64
.LBB19_89:
	s_or_b64 exec, exec, s[0:1]
	s_waitcnt vmcnt(4)
	v_cmp_lt_i16_e32 vcc, -1, v9
	; wave barrier
	s_nop 1
	v_cndmask_b32_e32 v0, -1, v10, vcc
	v_xor_b32_e32 v9, v0, v9
	v_cmp_ne_u16_e32 vcc, s12, v9
	s_nop 1
	v_cndmask_b32_e32 v0, v10, v9, vcc
	v_lshrrev_b32_sdwa v0, s48, v0 dst_sel:DWORD dst_unused:UNUSED_PAD src0_sel:DWORD src1_sel:WORD_0
	v_and_b32_e32 v14, s14, v0
	v_mul_u32_u24_e32 v0, 17, v14
	v_and_b32_e32 v4, 1, v14
	v_add_lshl_u32 v11, v18, v0, 2
	v_lshl_add_u64 v[0:1], v[4:5], 0, -1
	v_cmp_ne_u32_e32 vcc, 0, v4
	ds_read_b32 v10, v11 offset:64
	s_nop 0
	v_xor_b32_e32 v1, vcc_hi, v1
	v_xor_b32_e32 v0, vcc_lo, v0
	v_and_b32_e32 v4, exec_hi, v1
	v_and_b32_e32 v16, exec_lo, v0
	v_lshlrev_b32_e32 v1, 30, v14
	v_mov_b32_e32 v0, v5
	v_cmp_gt_i64_e32 vcc, 0, v[0:1]
	v_not_b32_e32 v0, v1
	v_ashrrev_i32_e32 v0, 31, v0
	v_xor_b32_e32 v1, vcc_hi, v0
	v_xor_b32_e32 v0, vcc_lo, v0
	v_and_b32_e32 v4, v4, v1
	v_and_b32_e32 v16, v16, v0
	v_lshlrev_b32_e32 v1, 29, v14
	v_mov_b32_e32 v0, v5
	v_cmp_gt_i64_e32 vcc, 0, v[0:1]
	v_not_b32_e32 v0, v1
	v_ashrrev_i32_e32 v0, 31, v0
	v_xor_b32_e32 v1, vcc_hi, v0
	v_xor_b32_e32 v0, vcc_lo, v0
	v_and_b32_e32 v4, v4, v1
	v_and_b32_e32 v16, v16, v0
	;; [unrolled: 9-line block ×7, first 2 shown]
	v_mbcnt_lo_u32_b32 v4, v0, 0
	v_mbcnt_hi_u32_b32 v14, v1, v4
	v_cmp_eq_u32_e32 vcc, 0, v14
	v_cmp_ne_u64_e64 s[0:1], 0, v[0:1]
	s_and_b64 s[4:5], s[0:1], vcc
	; wave barrier
	s_and_saveexec_b64 s[0:1], s[4:5]
	s_cbranch_execz .LBB19_91
; %bb.90:
	v_bcnt_u32_b32 v0, v0, 0
	v_bcnt_u32_b32 v0, v1, v0
	s_waitcnt lgkmcnt(0)
	v_add_u32_e32 v0, v10, v0
	ds_write_b32 v11, v0 offset:64
.LBB19_91:
	s_or_b64 exec, exec, s[0:1]
	v_mov_b32_e32 v22, 0xffff8000
	s_waitcnt vmcnt(3)
	v_cmp_lt_i16_e32 vcc, -1, v15
	s_movk_i32 s4, 0x7fff
	v_mov_b32_e32 v1, 0
	v_cndmask_b32_e32 v0, -1, v22, vcc
	v_xor_b32_e32 v15, v0, v15
	v_cmp_ne_u16_e32 vcc, s4, v15
	; wave barrier
	s_nop 1
	v_cndmask_b32_e32 v0, v22, v15, vcc
	v_lshrrev_b32_sdwa v0, s48, v0 dst_sel:DWORD dst_unused:UNUSED_PAD src0_sel:DWORD src1_sel:WORD_0
	v_and_b32_e32 v20, s14, v0
	v_mul_u32_u24_e32 v0, 17, v20
	v_add_lshl_u32 v19, v18, v0, 2
	v_and_b32_e32 v0, 1, v20
	v_lshl_add_u64 v[4:5], v[0:1], 0, -1
	v_cmp_ne_u32_e32 vcc, 0, v0
	ds_read_b32 v16, v19 offset:64
	s_nop 0
	v_xor_b32_e32 v4, vcc_lo, v4
	v_xor_b32_e32 v0, vcc_hi, v5
	v_and_b32_e32 v24, exec_lo, v4
	v_lshlrev_b32_e32 v5, 30, v20
	v_mov_b32_e32 v4, v1
	v_cmp_gt_i64_e32 vcc, 0, v[4:5]
	v_not_b32_e32 v4, v5
	v_ashrrev_i32_e32 v4, 31, v4
	v_and_b32_e32 v0, exec_hi, v0
	v_xor_b32_e32 v5, vcc_hi, v4
	v_xor_b32_e32 v4, vcc_lo, v4
	v_and_b32_e32 v0, v0, v5
	v_and_b32_e32 v24, v24, v4
	v_lshlrev_b32_e32 v5, 29, v20
	v_mov_b32_e32 v4, v1
	v_cmp_gt_i64_e32 vcc, 0, v[4:5]
	v_not_b32_e32 v4, v5
	v_ashrrev_i32_e32 v4, 31, v4
	v_xor_b32_e32 v5, vcc_hi, v4
	v_xor_b32_e32 v4, vcc_lo, v4
	v_and_b32_e32 v0, v0, v5
	v_and_b32_e32 v24, v24, v4
	v_lshlrev_b32_e32 v5, 28, v20
	v_mov_b32_e32 v4, v1
	v_cmp_gt_i64_e32 vcc, 0, v[4:5]
	v_not_b32_e32 v4, v5
	v_ashrrev_i32_e32 v4, 31, v4
	;; [unrolled: 9-line block ×6, first 2 shown]
	v_xor_b32_e32 v5, vcc_hi, v4
	v_xor_b32_e32 v4, vcc_lo, v4
	v_and_b32_e32 v4, v24, v4
	v_and_b32_e32 v5, v0, v5
	v_mbcnt_lo_u32_b32 v0, v4, 0
	v_mbcnt_hi_u32_b32 v20, v5, v0
	v_cmp_eq_u32_e32 vcc, 0, v20
	v_cmp_ne_u64_e64 s[0:1], 0, v[4:5]
	s_and_b64 s[6:7], s[0:1], vcc
	; wave barrier
	s_and_saveexec_b64 s[0:1], s[6:7]
	s_cbranch_execz .LBB19_93
; %bb.92:
	v_bcnt_u32_b32 v0, v4, 0
	v_bcnt_u32_b32 v0, v5, v0
	s_waitcnt lgkmcnt(0)
	v_add_u32_e32 v0, v16, v0
	ds_write_b32 v19, v0 offset:64
.LBB19_93:
	s_or_b64 exec, exec, s[0:1]
	s_waitcnt vmcnt(2)
	v_cmp_lt_i16_e32 vcc, -1, v21
	; wave barrier
	s_nop 1
	v_cndmask_b32_e32 v0, -1, v22, vcc
	v_xor_b32_e32 v21, v0, v21
	v_cmp_ne_u16_e32 vcc, s4, v21
	s_nop 1
	v_cndmask_b32_e32 v0, v22, v21, vcc
	v_lshrrev_b32_sdwa v0, s48, v0 dst_sel:DWORD dst_unused:UNUSED_PAD src0_sel:DWORD src1_sel:WORD_0
	v_and_b32_e32 v25, s14, v0
	v_mul_u32_u24_e32 v0, 17, v25
	v_add_lshl_u32 v24, v18, v0, 2
	v_and_b32_e32 v0, 1, v25
	v_lshl_add_u64 v[4:5], v[0:1], 0, -1
	v_cmp_ne_u32_e32 vcc, 0, v0
	ds_read_b32 v22, v24 offset:64
	s_nop 0
	v_xor_b32_e32 v4, vcc_lo, v4
	v_xor_b32_e32 v0, vcc_hi, v5
	v_and_b32_e32 v26, exec_lo, v4
	v_lshlrev_b32_e32 v5, 30, v25
	v_mov_b32_e32 v4, v1
	v_cmp_gt_i64_e32 vcc, 0, v[4:5]
	v_not_b32_e32 v4, v5
	v_ashrrev_i32_e32 v4, 31, v4
	v_and_b32_e32 v0, exec_hi, v0
	v_xor_b32_e32 v5, vcc_hi, v4
	v_xor_b32_e32 v4, vcc_lo, v4
	v_and_b32_e32 v0, v0, v5
	v_and_b32_e32 v26, v26, v4
	v_lshlrev_b32_e32 v5, 29, v25
	v_mov_b32_e32 v4, v1
	v_cmp_gt_i64_e32 vcc, 0, v[4:5]
	v_not_b32_e32 v4, v5
	v_ashrrev_i32_e32 v4, 31, v4
	v_xor_b32_e32 v5, vcc_hi, v4
	v_xor_b32_e32 v4, vcc_lo, v4
	v_and_b32_e32 v0, v0, v5
	v_and_b32_e32 v26, v26, v4
	v_lshlrev_b32_e32 v5, 28, v25
	v_mov_b32_e32 v4, v1
	v_cmp_gt_i64_e32 vcc, 0, v[4:5]
	v_not_b32_e32 v4, v5
	v_ashrrev_i32_e32 v4, 31, v4
	;; [unrolled: 9-line block ×5, first 2 shown]
	v_xor_b32_e32 v5, vcc_hi, v4
	v_xor_b32_e32 v4, vcc_lo, v4
	v_and_b32_e32 v0, v0, v5
	v_lshlrev_b32_e32 v5, 24, v25
	v_and_b32_e32 v26, v26, v4
	v_mov_b32_e32 v4, v1
	v_not_b32_e32 v1, v5
	v_cmp_gt_i64_e32 vcc, 0, v[4:5]
	v_ashrrev_i32_e32 v1, 31, v1
	; wave barrier
	s_nop 0
	v_xor_b32_e32 v4, vcc_hi, v1
	v_xor_b32_e32 v5, vcc_lo, v1
	v_and_b32_e32 v1, v0, v4
	v_and_b32_e32 v0, v26, v5
	v_mbcnt_lo_u32_b32 v4, v0, 0
	v_mbcnt_hi_u32_b32 v25, v1, v4
	v_cmp_eq_u32_e32 vcc, 0, v25
	v_cmp_ne_u64_e64 s[0:1], 0, v[0:1]
	s_and_b64 s[4:5], s[0:1], vcc
	s_and_saveexec_b64 s[0:1], s[4:5]
	s_cbranch_execz .LBB19_95
; %bb.94:
	v_bcnt_u32_b32 v0, v0, 0
	v_bcnt_u32_b32 v0, v1, v0
	s_waitcnt lgkmcnt(0)
	v_add_u32_e32 v0, v22, v0
	ds_write_b32 v24, v0 offset:64
.LBB19_95:
	s_or_b64 exec, exec, s[0:1]
	v_mov_b32_e32 v30, 0xffff8000
	s_waitcnt vmcnt(1)
	v_cmp_lt_i16_e32 vcc, -1, v23
	s_movk_i32 s4, 0x7fff
	v_mov_b32_e32 v1, 0
	v_cndmask_b32_e32 v0, -1, v30, vcc
	v_xor_b32_e32 v23, v0, v23
	v_cmp_ne_u16_e32 vcc, s4, v23
	; wave barrier
	s_nop 1
	v_cndmask_b32_e32 v0, v30, v23, vcc
	v_lshrrev_b32_sdwa v0, s48, v0 dst_sel:DWORD dst_unused:UNUSED_PAD src0_sel:DWORD src1_sel:WORD_0
	v_and_b32_e32 v28, s14, v0
	v_mul_u32_u24_e32 v0, 17, v28
	v_add_lshl_u32 v27, v0, v18, 2
	v_and_b32_e32 v0, 1, v28
	v_lshl_add_u64 v[4:5], v[0:1], 0, -1
	v_cmp_ne_u32_e32 vcc, 0, v0
	ds_read_b32 v26, v27 offset:64
	s_nop 0
	v_xor_b32_e32 v4, vcc_lo, v4
	v_xor_b32_e32 v0, vcc_hi, v5
	v_and_b32_e32 v29, exec_lo, v4
	v_lshlrev_b32_e32 v5, 30, v28
	v_mov_b32_e32 v4, v1
	v_cmp_gt_i64_e32 vcc, 0, v[4:5]
	v_not_b32_e32 v4, v5
	v_ashrrev_i32_e32 v4, 31, v4
	v_and_b32_e32 v0, exec_hi, v0
	v_xor_b32_e32 v5, vcc_hi, v4
	v_xor_b32_e32 v4, vcc_lo, v4
	v_and_b32_e32 v0, v0, v5
	v_and_b32_e32 v29, v29, v4
	v_lshlrev_b32_e32 v5, 29, v28
	v_mov_b32_e32 v4, v1
	v_cmp_gt_i64_e32 vcc, 0, v[4:5]
	v_not_b32_e32 v4, v5
	v_ashrrev_i32_e32 v4, 31, v4
	v_xor_b32_e32 v5, vcc_hi, v4
	v_xor_b32_e32 v4, vcc_lo, v4
	v_and_b32_e32 v0, v0, v5
	v_and_b32_e32 v29, v29, v4
	v_lshlrev_b32_e32 v5, 28, v28
	v_mov_b32_e32 v4, v1
	v_cmp_gt_i64_e32 vcc, 0, v[4:5]
	v_not_b32_e32 v4, v5
	v_ashrrev_i32_e32 v4, 31, v4
	;; [unrolled: 9-line block ×6, first 2 shown]
	v_xor_b32_e32 v5, vcc_hi, v4
	v_xor_b32_e32 v4, vcc_lo, v4
	v_and_b32_e32 v4, v29, v4
	v_and_b32_e32 v5, v0, v5
	v_mbcnt_lo_u32_b32 v0, v4, 0
	v_mbcnt_hi_u32_b32 v28, v5, v0
	v_cmp_eq_u32_e32 vcc, 0, v28
	v_cmp_ne_u64_e64 s[0:1], 0, v[4:5]
	s_and_b64 s[6:7], s[0:1], vcc
	; wave barrier
	s_and_saveexec_b64 s[0:1], s[6:7]
	s_cbranch_execz .LBB19_97
; %bb.96:
	v_bcnt_u32_b32 v0, v4, 0
	v_bcnt_u32_b32 v0, v5, v0
	s_waitcnt lgkmcnt(0)
	v_add_u32_e32 v0, v26, v0
	ds_write_b32 v27, v0 offset:64
.LBB19_97:
	s_or_b64 exec, exec, s[0:1]
	s_waitcnt vmcnt(0)
	v_cmp_lt_i16_e32 vcc, -1, v17
	; wave barrier
	s_nop 1
	v_cndmask_b32_e32 v0, -1, v30, vcc
	v_xor_b32_e32 v29, v0, v17
	v_cmp_ne_u16_e32 vcc, s4, v29
	v_add_u32_e32 v31, 64, v6
	s_nop 0
	v_cndmask_b32_e32 v0, v30, v29, vcc
	v_lshrrev_b32_sdwa v0, s48, v0 dst_sel:DWORD dst_unused:UNUSED_PAD src0_sel:DWORD src1_sel:WORD_0
	v_and_b32_e32 v32, s14, v0
	v_mul_u32_u24_e32 v0, 17, v32
	v_add_lshl_u32 v17, v0, v18, 2
	v_and_b32_e32 v0, 1, v32
	v_lshl_add_u64 v[4:5], v[0:1], 0, -1
	v_cmp_ne_u32_e32 vcc, 0, v0
	ds_read_b32 v30, v17 offset:64
	s_nop 0
	v_xor_b32_e32 v4, vcc_lo, v4
	v_xor_b32_e32 v0, vcc_hi, v5
	v_and_b32_e32 v18, exec_lo, v4
	v_lshlrev_b32_e32 v5, 30, v32
	v_mov_b32_e32 v4, v1
	v_cmp_gt_i64_e32 vcc, 0, v[4:5]
	v_not_b32_e32 v4, v5
	v_ashrrev_i32_e32 v4, 31, v4
	v_and_b32_e32 v0, exec_hi, v0
	v_xor_b32_e32 v5, vcc_hi, v4
	v_xor_b32_e32 v4, vcc_lo, v4
	v_and_b32_e32 v0, v0, v5
	v_and_b32_e32 v18, v18, v4
	v_lshlrev_b32_e32 v5, 29, v32
	v_mov_b32_e32 v4, v1
	v_cmp_gt_i64_e32 vcc, 0, v[4:5]
	v_not_b32_e32 v4, v5
	v_ashrrev_i32_e32 v4, 31, v4
	v_xor_b32_e32 v5, vcc_hi, v4
	v_xor_b32_e32 v4, vcc_lo, v4
	v_and_b32_e32 v0, v0, v5
	v_and_b32_e32 v18, v18, v4
	v_lshlrev_b32_e32 v5, 28, v32
	v_mov_b32_e32 v4, v1
	v_cmp_gt_i64_e32 vcc, 0, v[4:5]
	v_not_b32_e32 v4, v5
	v_ashrrev_i32_e32 v4, 31, v4
	;; [unrolled: 9-line block ×5, first 2 shown]
	v_xor_b32_e32 v5, vcc_hi, v4
	v_xor_b32_e32 v4, vcc_lo, v4
	v_and_b32_e32 v0, v0, v5
	v_lshlrev_b32_e32 v5, 24, v32
	v_and_b32_e32 v18, v18, v4
	v_mov_b32_e32 v4, v1
	v_not_b32_e32 v1, v5
	v_cmp_gt_i64_e32 vcc, 0, v[4:5]
	v_ashrrev_i32_e32 v1, 31, v1
	; wave barrier
	s_nop 0
	v_xor_b32_e32 v4, vcc_hi, v1
	v_xor_b32_e32 v5, vcc_lo, v1
	v_and_b32_e32 v1, v0, v4
	v_and_b32_e32 v0, v18, v5
	v_mbcnt_lo_u32_b32 v4, v0, 0
	v_mbcnt_hi_u32_b32 v32, v1, v4
	v_cmp_eq_u32_e32 vcc, 0, v32
	v_cmp_ne_u64_e64 s[0:1], 0, v[0:1]
	s_and_b64 s[4:5], s[0:1], vcc
	s_and_saveexec_b64 s[0:1], s[4:5]
	s_cbranch_execz .LBB19_99
; %bb.98:
	v_bcnt_u32_b32 v0, v0, 0
	v_bcnt_u32_b32 v0, v1, v0
	s_waitcnt lgkmcnt(0)
	v_add_u32_e32 v0, v30, v0
	ds_write_b32 v17, v0 offset:64
.LBB19_99:
	s_or_b64 exec, exec, s[0:1]
	; wave barrier
	s_waitcnt lgkmcnt(0)
	s_barrier
	ds_read2_b32 v[4:5], v6 offset0:16 offset1:17
	ds_read2_b32 v[0:1], v31 offset0:2 offset1:3
	ds_read_b32 v18, v31 offset:16
	v_cmp_lt_u32_e64 s[8:9], 31, v13
	s_waitcnt lgkmcnt(1)
	v_add3_u32 v33, v5, v4, v0
	s_waitcnt lgkmcnt(0)
	v_add3_u32 v18, v33, v1, v18
	v_and_b32_e32 v33, 15, v13
	v_cmp_eq_u32_e32 vcc, 0, v33
	v_mov_b32_dpp v34, v18 row_shr:1 row_mask:0xf bank_mask:0xf
	v_cmp_lt_u32_e64 s[0:1], 1, v33
	v_cndmask_b32_e64 v34, v34, 0, vcc
	v_add_u32_e32 v18, v34, v18
	v_cmp_lt_u32_e64 s[6:7], 3, v33
	v_cmp_lt_u32_e64 s[4:5], 7, v33
	v_mov_b32_dpp v34, v18 row_shr:2 row_mask:0xf bank_mask:0xf
	v_cndmask_b32_e64 v34, 0, v34, s[0:1]
	v_add_u32_e32 v18, v18, v34
	s_nop 1
	v_mov_b32_dpp v34, v18 row_shr:4 row_mask:0xf bank_mask:0xf
	v_cndmask_b32_e64 v34, 0, v34, s[6:7]
	v_add_u32_e32 v18, v18, v34
	s_nop 1
	v_mov_b32_dpp v34, v18 row_shr:8 row_mask:0xf bank_mask:0xf
	v_cndmask_b32_e64 v33, 0, v34, s[4:5]
	v_add_u32_e32 v18, v18, v33
	v_bfe_i32 v34, v13, 4, 1
	s_nop 0
	v_mov_b32_dpp v33, v18 row_bcast:15 row_mask:0xf bank_mask:0xf
	v_and_b32_e32 v33, v34, v33
	v_add_u32_e32 v18, v18, v33
	v_and_b32_e32 v34, 63, v2
	s_nop 0
	v_mov_b32_dpp v33, v18 row_bcast:31 row_mask:0xf bank_mask:0xf
	v_cndmask_b32_e64 v33, 0, v33, s[8:9]
	v_add_u32_e32 v18, v18, v33
	v_lshrrev_b32_e32 v33, 6, v2
	v_cmp_eq_u32_e64 s[8:9], 63, v34
	s_and_saveexec_b64 s[12:13], s[8:9]
	s_cbranch_execz .LBB19_101
; %bb.100:
	v_lshlrev_b32_e32 v34, 2, v33
	ds_write_b32 v34, v18
.LBB19_101:
	s_or_b64 exec, exec, s[12:13]
	v_cmp_gt_u32_e64 s[8:9], 16, v2
	s_waitcnt lgkmcnt(0)
	s_barrier
	s_and_saveexec_b64 s[12:13], s[8:9]
	s_cbranch_execz .LBB19_103
; %bb.102:
	v_lshlrev_b32_e32 v34, 2, v2
	ds_read_b32 v35, v34
	s_waitcnt lgkmcnt(0)
	s_nop 0
	v_mov_b32_dpp v36, v35 row_shr:1 row_mask:0xf bank_mask:0xf
	v_cndmask_b32_e64 v36, v36, 0, vcc
	v_add_u32_e32 v35, v36, v35
	s_nop 1
	v_mov_b32_dpp v36, v35 row_shr:2 row_mask:0xf bank_mask:0xf
	v_cndmask_b32_e64 v36, 0, v36, s[0:1]
	v_add_u32_e32 v35, v35, v36
	s_nop 1
	v_mov_b32_dpp v36, v35 row_shr:4 row_mask:0xf bank_mask:0xf
	v_cndmask_b32_e64 v36, 0, v36, s[6:7]
	;; [unrolled: 4-line block ×3, first 2 shown]
	v_add_u32_e32 v35, v35, v36
	ds_write_b32 v34, v35
.LBB19_103:
	s_or_b64 exec, exec, s[12:13]
	v_cmp_lt_u32_e32 vcc, 63, v2
	v_mov_b32_e32 v34, 0
	s_waitcnt lgkmcnt(0)
	s_barrier
	s_and_saveexec_b64 s[0:1], vcc
	s_cbranch_execz .LBB19_105
; %bb.104:
	v_lshl_add_u32 v33, v33, 2, -4
	ds_read_b32 v34, v33
.LBB19_105:
	s_or_b64 exec, exec, s[0:1]
	v_add_u32_e32 v33, -1, v13
	v_and_b32_e32 v35, 64, v13
	v_cmp_lt_i32_e32 vcc, v33, v35
	s_waitcnt lgkmcnt(0)
	v_add_u32_e32 v18, v34, v18
	s_movk_i32 s4, 0xff
	v_cndmask_b32_e32 v33, v33, v13, vcc
	v_lshlrev_b32_e32 v33, 2, v33
	ds_bpermute_b32 v18, v33, v18
	v_cmp_eq_u32_e32 vcc, 0, v13
	s_movk_i32 s5, 0x100
	v_cmp_lt_u32_e64 s[0:1], s4, v2
	s_waitcnt lgkmcnt(0)
	v_cndmask_b32_e32 v18, v18, v34, vcc
	v_cmp_ne_u32_e32 vcc, 0, v2
	s_nop 1
	v_cndmask_b32_e32 v18, 0, v18, vcc
	v_add_u32_e32 v4, v18, v4
	v_add_u32_e32 v5, v4, v5
	v_add_u32_e32 v0, v5, v0
	v_add_u32_e32 v1, v0, v1
	ds_write2_b32 v6, v18, v4 offset0:16 offset1:17
	ds_write2_b32 v31, v5, v0 offset0:2 offset1:3
	ds_write_b32 v31, v1 offset:16
	s_waitcnt lgkmcnt(0)
	s_barrier
	ds_read_b32 v5, v7 offset:64
	ds_read_b32 v6, v11 offset:64
	;; [unrolled: 1-line block ×6, first 2 shown]
	v_cmp_gt_u32_e32 vcc, s5, v2
	v_mov_b64_e32 v[0:1], 0
                                        ; implicit-def: $vgpr4
	s_and_saveexec_b64 s[6:7], vcc
	s_cbranch_execz .LBB19_109
; %bb.106:
	v_mul_u32_u24_e32 v0, 17, v2
	v_lshlrev_b32_e32 v4, 2, v0
	ds_read_b32 v0, v4 offset:64
	v_cmp_ne_u32_e64 s[4:5], s4, v2
	v_mov_b32_e32 v1, 0x1800
	s_and_saveexec_b64 s[8:9], s[4:5]
	s_cbranch_execz .LBB19_108
; %bb.107:
	ds_read_b32 v1, v4 offset:132
.LBB19_108:
	s_or_b64 exec, exec, s[8:9]
	s_waitcnt lgkmcnt(0)
	v_sub_u32_e32 v4, v1, v0
	v_mov_b32_e32 v1, 0
.LBB19_109:
	s_or_b64 exec, exec, s[6:7]
	s_waitcnt lgkmcnt(5)
	v_add_u32_e32 v19, v5, v8
	s_waitcnt lgkmcnt(4)
	v_add3_u32 v18, v14, v10, v6
	v_lshlrev_b32_e32 v6, 1, v19
	s_waitcnt lgkmcnt(3)
	v_add3_u32 v17, v20, v16, v7
	s_waitcnt lgkmcnt(0)
	s_barrier
	ds_write_b16 v6, v3 offset:2048
	v_lshlrev_b32_e32 v3, 1, v18
	v_add3_u32 v16, v25, v22, v11
	ds_write_b16 v3, v9 offset:2048
	v_lshlrev_b32_e32 v3, 1, v17
	v_add3_u32 v14, v28, v26, v24
	;; [unrolled: 3-line block ×3, first 2 shown]
	ds_write_b16 v3, v21 offset:2048
	v_lshlrev_b32_e32 v3, 1, v14
	ds_write_b16 v3, v23 offset:2048
	v_lshlrev_b32_e32 v3, 1, v5
	ds_write_b16 v3, v29 offset:2048
	s_waitcnt lgkmcnt(0)
	s_barrier
	s_and_saveexec_b64 s[4:5], s[0:1]
	s_xor_b64 s[0:1], exec, s[4:5]
; %bb.110:
	v_mov_b32_e32 v3, 0
; %bb.111:
	s_andn2_saveexec_b64 s[4:5], s[0:1]
	s_cbranch_execz .LBB19_121
; %bb.112:
	v_lshl_or_b32 v8, s2, 8, v2
	v_mov_b32_e32 v9, 0
	v_lshl_add_u64 v[6:7], v[8:9], 2, s[34:35]
	v_or_b32_e32 v3, 2.0, v4
	s_mov_b64 s[6:7], 0
	s_brev_b32 s15, 1
	s_mov_b32 s16, s2
	v_mov_b32_e32 v15, 0
	global_store_dword v[6:7], v3, off sc1
                                        ; implicit-def: $sgpr0_sgpr1
	s_branch .LBB19_115
.LBB19_113:                             ;   in Loop: Header=BB19_115 Depth=1
	s_or_b64 exec, exec, s[12:13]
.LBB19_114:                             ;   in Loop: Header=BB19_115 Depth=1
	s_or_b64 exec, exec, s[8:9]
	v_and_b32_e32 v8, 0x3fffffff, v8
	v_add_u32_e32 v15, v8, v15
	v_cmp_eq_u32_e64 s[0:1], s15, v3
	s_and_b64 s[8:9], exec, s[0:1]
	s_or_b64 s[6:7], s[8:9], s[6:7]
	s_andn2_b64 exec, exec, s[6:7]
	s_cbranch_execz .LBB19_120
.LBB19_115:                             ; =>This Loop Header: Depth=1
                                        ;     Child Loop BB19_118 Depth 2
	s_or_b64 s[0:1], s[0:1], exec
	s_cmp_eq_u32 s16, 0
	s_cbranch_scc1 .LBB19_119
; %bb.116:                              ;   in Loop: Header=BB19_115 Depth=1
	s_add_i32 s16, s16, -1
	v_lshl_or_b32 v8, s16, 8, v2
	v_lshl_add_u64 v[10:11], v[8:9], 2, s[34:35]
	global_load_dword v8, v[10:11], off sc1
	s_waitcnt vmcnt(0)
	v_and_b32_e32 v3, -2.0, v8
	v_cmp_eq_u32_e64 s[0:1], 0, v3
	s_and_saveexec_b64 s[8:9], s[0:1]
	s_cbranch_execz .LBB19_114
; %bb.117:                              ;   in Loop: Header=BB19_115 Depth=1
	s_mov_b64 s[12:13], 0
.LBB19_118:                             ;   Parent Loop BB19_115 Depth=1
                                        ; =>  This Inner Loop Header: Depth=2
	global_load_dword v8, v[10:11], off sc1
	s_waitcnt vmcnt(0)
	v_and_b32_e32 v3, -2.0, v8
	v_cmp_ne_u32_e64 s[0:1], 0, v3
	s_or_b64 s[12:13], s[0:1], s[12:13]
	s_andn2_b64 exec, exec, s[12:13]
	s_cbranch_execnz .LBB19_118
	s_branch .LBB19_113
.LBB19_119:                             ;   in Loop: Header=BB19_115 Depth=1
                                        ; implicit-def: $sgpr16
	s_and_b64 s[8:9], exec, s[0:1]
	s_or_b64 s[6:7], s[8:9], s[6:7]
	s_andn2_b64 exec, exec, s[6:7]
	s_cbranch_execnz .LBB19_115
.LBB19_120:
	s_or_b64 exec, exec, s[6:7]
	v_add_u32_e32 v3, v15, v4
	v_or_b32_e32 v3, 0x80000000, v3
	global_store_dword v[6:7], v3, off sc1
	v_lshlrev_b32_e32 v10, 3, v2
	global_load_dwordx2 v[6:7], v10, s[44:45]
	v_sub_co_u32_e64 v8, s[0:1], v15, v0
	v_mov_b32_e32 v3, 0
	s_nop 0
	v_subb_co_u32_e64 v9, s[0:1], 0, v1, s[0:1]
	s_waitcnt vmcnt(0)
	v_lshl_add_u64 v[6:7], v[8:9], 0, v[6:7]
	ds_write_b64 v10, v[6:7]
.LBB19_121:
	s_or_b64 exec, exec, s[4:5]
	v_lshlrev_b32_e32 v15, 1, v2
	s_waitcnt lgkmcnt(0)
	s_barrier
	ds_read_u16 v40, v15 offset:8192
	ds_read_u16 v43, v15 offset:12288
	;; [unrolled: 1-line block ×4, first 2 shown]
	s_movk_i32 s4, 0x7fff
	v_mov_b32_e32 v41, 0xffff8000
	s_waitcnt lgkmcnt(3)
	v_cmp_ne_u16_e64 s[0:1], s4, v40
	v_or_b32_e32 v42, 0x800, v2
	v_or_b32_e32 v50, 0xc00, v2
	v_cndmask_b32_e64 v6, v41, v40, s[0:1]
	v_lshrrev_b32_sdwa v6, s48, v6 dst_sel:DWORD dst_unused:UNUSED_PAD src0_sel:DWORD src1_sel:WORD_0
	s_waitcnt lgkmcnt(1)
	v_cmp_ne_u16_e64 s[0:1], s4, v44
	v_and_b32_e32 v6, s14, v6
	v_lshlrev_b32_e32 v47, 3, v6
	v_cndmask_b32_e64 v7, v41, v44, s[0:1]
	s_waitcnt lgkmcnt(0)
	v_cmp_ne_u16_e64 s[0:1], s4, v45
	v_lshrrev_b32_sdwa v7, s48, v7 dst_sel:DWORD dst_unused:UNUSED_PAD src0_sel:DWORD src1_sel:WORD_0
	v_and_b32_e32 v7, s14, v7
	v_cndmask_b32_e64 v6, v41, v45, s[0:1]
	v_lshrrev_b32_sdwa v6, s48, v6 dst_sel:DWORD dst_unused:UNUSED_PAD src0_sel:DWORD src1_sel:WORD_0
	v_and_b32_e32 v6, s14, v6
	v_cmp_ne_u16_e64 s[0:1], s4, v43
	v_lshlrev_b32_e32 v48, 3, v6
	v_lshlrev_b32_e32 v46, 3, v7
	v_cndmask_b32_e64 v6, v41, v43, s[0:1]
	v_lshrrev_b32_sdwa v6, s48, v6 dst_sel:DWORD dst_unused:UNUSED_PAD src0_sel:DWORD src1_sel:WORD_0
	v_and_b32_e32 v8, s14, v6
	ds_read_b64 v[6:7], v46
	v_lshlrev_b32_e32 v49, 3, v8
	ds_read_b64 v[8:9], v47
	ds_read_b64 v[10:11], v48
	;; [unrolled: 1-line block ×3, first 2 shown]
	v_or_b32_e32 v51, 0x1000, v2
	v_or_b32_e32 v52, 0x1400, v2
	s_waitcnt lgkmcnt(3)
	v_lshl_add_u64 v[22:23], v[6:7], 1, s[38:39]
	v_lshlrev_b32_e32 v6, 1, v42
	v_mov_b32_e32 v7, 0
	v_lshl_add_u64 v[22:23], v[22:23], 0, v[6:7]
	s_waitcnt lgkmcnt(2)
	v_lshl_add_u64 v[8:9], v[8:9], 1, s[38:39]
	v_lshlrev_b32_e32 v6, 1, v50
	v_lshl_add_u64 v[8:9], v[8:9], 0, v[6:7]
	s_waitcnt lgkmcnt(1)
	v_lshl_add_u64 v[10:11], v[10:11], 1, s[38:39]
	v_lshlrev_b32_e32 v6, 1, v51
	s_lshl_b64 s[0:1], s[30:31], 3
	v_lshl_add_u64 v[10:11], v[10:11], 0, v[6:7]
	s_waitcnt lgkmcnt(0)
	v_lshl_add_u64 v[20:21], v[20:21], 1, s[38:39]
	v_lshlrev_b32_e32 v6, 1, v52
	s_add_u32 s0, s40, s0
	v_lshl_add_u64 v[20:21], v[20:21], 0, v[6:7]
	s_addc_u32 s1, s41, s1
	v_lshlrev_b32_e32 v6, 3, v13
	v_lshl_add_u64 v[24:25], s[0:1], 0, v[6:7]
	v_lshlrev_b32_e32 v6, 3, v12
	v_lshl_add_u64 v[12:13], v[24:25], 0, v[6:7]
	global_load_dwordx2 v[24:25], v[12:13], off
	global_load_dwordx2 v[26:27], v[12:13], off offset:512
	global_load_dwordx2 v[28:29], v[12:13], off offset:1024
	;; [unrolled: 1-line block ×5, first 2 shown]
	v_lshlrev_b32_e32 v6, 1, v2
	ds_read_u16 v6, v6 offset:2048
	ds_read_u16 v53, v15 offset:4096
	v_lshlrev_b32_e32 v5, 3, v5
	s_add_i32 s3, s3, -1
	s_cmp_eq_u32 s2, s3
	s_waitcnt lgkmcnt(1)
	v_cmp_ne_u16_e64 s[0:1], s4, v6
	s_nop 1
	v_cndmask_b32_e64 v12, v41, v6, s[0:1]
	v_lshrrev_b32_sdwa v12, s48, v12 dst_sel:DWORD dst_unused:UNUSED_PAD src0_sel:DWORD src1_sel:WORD_0
	v_and_b32_e32 v12, s14, v12
	s_waitcnt lgkmcnt(0)
	v_cmp_ne_u16_e64 s[0:1], s4, v53
	v_lshlrev_b32_e32 v54, 3, v12
	ds_read_b64 v[12:13], v54
	v_cndmask_b32_e64 v36, v41, v53, s[0:1]
	v_lshrrev_b32_sdwa v36, s48, v36 dst_sel:DWORD dst_unused:UNUSED_PAD src0_sel:DWORD src1_sel:WORD_0
	v_and_b32_e32 v36, s14, v36
	v_lshlrev_b32_e32 v55, 3, v36
	ds_read_b64 v[36:37], v55
	v_cmp_lt_i16_e64 s[0:1], -1, v6
	s_waitcnt lgkmcnt(1)
	v_lshl_add_u64 v[12:13], v[12:13], 1, s[38:39]
	v_cndmask_b32_e64 v38, v41, -1, s[0:1]
	v_xor_b32_e32 v6, v38, v6
	v_lshlrev_b64 v[38:39], 1, v[2:3]
	v_lshl_add_u64 v[12:13], v[12:13], 0, v[38:39]
	v_cmp_lt_i16_e64 s[0:1], -1, v53
	global_store_short v[12:13], v6, off
	v_or_b32_e32 v6, 0x800, v15
	v_cndmask_b32_e64 v12, v41, -1, s[0:1]
	v_xor_b32_e32 v15, v12, v53
	s_waitcnt lgkmcnt(0)
	v_lshl_add_u64 v[12:13], v[36:37], 1, s[38:39]
	v_lshl_add_u64 v[12:13], v[12:13], 0, v[38:39]
	v_cmp_lt_i16_e64 s[0:1], -1, v44
	global_store_short v[12:13], v15, off offset:2048
	s_nop 0
	v_cndmask_b32_e64 v12, v41, -1, s[0:1]
	v_xor_b32_e32 v12, v12, v44
	v_cmp_lt_i16_e64 s[0:1], -1, v40
	global_store_short v[22:23], v12, off
	s_nop 0
	v_cndmask_b32_e64 v12, v41, -1, s[0:1]
	v_xor_b32_e32 v12, v12, v40
	v_cmp_lt_i16_e64 s[0:1], -1, v45
	global_store_short v[8:9], v12, off
	;; [unrolled: 5-line block ×3, first 2 shown]
	s_nop 0
	v_cndmask_b32_e64 v8, v41, -1, s[0:1]
	v_xor_b32_e32 v8, v8, v43
	global_store_short v[20:21], v8, off
	v_lshlrev_b32_e32 v8, 3, v19
	s_barrier
	s_cselect_b64 s[0:1], -1, 0
	s_and_b64 s[2:3], vcc, s[0:1]
	s_waitcnt vmcnt(11)
	ds_write_b64 v8, v[24:25] offset:2048
	v_lshlrev_b32_e32 v8, 3, v18
	s_waitcnt vmcnt(10)
	ds_write_b64 v8, v[26:27] offset:2048
	v_lshlrev_b32_e32 v8, 3, v17
	;; [unrolled: 3-line block ×4, first 2 shown]
	s_waitcnt vmcnt(7)
	ds_write_b64 v8, v[32:33] offset:2048
	s_waitcnt vmcnt(6)
	ds_write_b64 v5, v[34:35] offset:2048
	s_waitcnt lgkmcnt(0)
	s_barrier
	ds_read_b64 v[8:9], v54
	v_lshlrev_b32_e32 v5, 3, v2
	ds_read_b64 v[12:13], v55
	ds_read_b64 v[14:15], v46
	;; [unrolled: 1-line block ×3, first 2 shown]
	ds_read_b64 v[10:11], v5 offset:2048
	v_mad_u32_u24 v5, v2, 6, v6
	s_waitcnt lgkmcnt(4)
	v_lshl_add_u64 v[8:9], v[8:9], 3, s[42:43]
	v_lshl_add_u64 v[8:9], v[2:3], 3, v[8:9]
	ds_read_b64 v[18:19], v48
	ds_read_b64 v[20:21], v5 offset:40960
	ds_read_b64 v[22:23], v49
	s_waitcnt lgkmcnt(3)
	global_store_dwordx2 v[8:9], v[10:11], off
	ds_read2st64_b64 v[8:11], v5 offset0:16 offset1:32
	v_mov_b32_e32 v6, 0x2000
	v_lshl_add_u64 v[12:13], v[12:13], 3, s[42:43]
	v_lshl_or_b32 v6, v2, 3, v6
	v_lshl_add_u64 v[12:13], v[12:13], 0, v[6:7]
	s_waitcnt lgkmcnt(0)
	global_store_dwordx2 v[12:13], v[8:9], off
	v_lshl_add_u64 v[8:9], v[14:15], 3, s[42:43]
	ds_read2st64_b64 v[12:15], v5 offset0:48 offset1:64
	v_lshlrev_b32_e32 v6, 3, v42
	v_lshl_add_u64 v[8:9], v[8:9], 0, v[6:7]
	global_store_dwordx2 v[8:9], v[10:11], off
	v_lshl_add_u64 v[8:9], v[16:17], 3, s[42:43]
	v_lshlrev_b32_e32 v6, 3, v50
	v_lshl_add_u64 v[8:9], v[8:9], 0, v[6:7]
	s_waitcnt lgkmcnt(0)
	global_store_dwordx2 v[8:9], v[12:13], off
	v_lshl_add_u64 v[8:9], v[18:19], 3, s[42:43]
	v_lshlrev_b32_e32 v6, 3, v51
	v_lshl_add_u64 v[8:9], v[8:9], 0, v[6:7]
	global_store_dwordx2 v[8:9], v[14:15], off
	v_lshl_add_u64 v[8:9], v[22:23], 3, s[42:43]
	v_lshlrev_b32_e32 v6, 3, v52
	v_lshl_add_u64 v[8:9], v[8:9], 0, v[6:7]
	global_store_dwordx2 v[8:9], v[20:21], off
                                        ; implicit-def: $vgpr8_vgpr9
	s_and_saveexec_b64 s[0:1], s[2:3]
; %bb.122:
	v_mov_b32_e32 v5, v7
	v_lshl_add_u64 v[8:9], v[0:1], 0, v[4:5]
	s_or_b64 s[10:11], s[10:11], exec
; %bb.123:
	s_or_b64 exec, exec, s[0:1]
.LBB19_124:
	s_and_saveexec_b64 s[0:1], s[10:11]
	s_cbranch_execnz .LBB19_126
; %bb.125:
	s_endpgm
.LBB19_126:
	v_lshlrev_b32_e32 v0, 3, v2
	ds_read_b64 v[0:1], v0
	v_mov_b32_e32 v4, s46
	v_mov_b32_e32 v5, s47
	v_lshl_add_u64 v[2:3], v[2:3], 3, v[4:5]
	s_waitcnt lgkmcnt(0)
	v_lshl_add_u64 v[0:1], v[0:1], 0, v[8:9]
	global_store_dwordx2 v[2:3], v[0:1], off
	s_endpgm
.LBB19_127:
	global_load_dwordx2 v[10:11], v[22:23], off
	s_or_b64 exec, exec, s[28:29]
                                        ; implicit-def: $vgpr12_vgpr13
	s_and_saveexec_b64 s[28:29], s[26:27]
	s_cbranch_execz .LBB19_59
.LBB19_128:
	global_load_dwordx2 v[12:13], v[22:23], off offset:512
	s_or_b64 exec, exec, s[28:29]
                                        ; implicit-def: $vgpr14_vgpr15
	s_and_saveexec_b64 s[26:27], s[4:5]
	s_cbranch_execz .LBB19_60
.LBB19_129:
	global_load_dwordx2 v[14:15], v[22:23], off offset:1024
	s_or_b64 exec, exec, s[26:27]
                                        ; implicit-def: $vgpr16_vgpr17
	s_and_saveexec_b64 s[4:5], s[6:7]
	s_cbranch_execz .LBB19_61
.LBB19_130:
	global_load_dwordx2 v[16:17], v[22:23], off offset:1536
	s_or_b64 exec, exec, s[4:5]
                                        ; implicit-def: $vgpr18_vgpr19
	s_and_saveexec_b64 s[4:5], s[8:9]
	s_cbranch_execz .LBB19_62
.LBB19_131:
	global_load_dwordx2 v[18:19], v[22:23], off offset:2048
	s_or_b64 exec, exec, s[4:5]
                                        ; implicit-def: $vgpr20_vgpr21
	s_and_saveexec_b64 s[4:5], s[10:11]
	s_cbranch_execnz .LBB19_63
	s_branch .LBB19_64
.LBB19_132:
	v_lshlrev_b32_e32 v7, 3, v9
	ds_read_b64 v[10:11], v7
	ds_read_b64 v[12:13], v8 offset:2048
	v_mov_b32_e32 v9, 0
	s_waitcnt lgkmcnt(1)
	v_lshl_add_u64 v[10:11], v[10:11], 3, s[42:43]
	v_lshl_add_u64 v[10:11], v[10:11], 0, v[8:9]
	s_waitcnt lgkmcnt(0)
	global_store_dwordx2 v[10:11], v[12:13], off
	s_or_b64 exec, exec, s[4:5]
	s_and_saveexec_b64 s[4:5], s[16:17]
	s_cbranch_execz .LBB19_78
.LBB19_133:
	v_lshlrev_b32_e32 v7, 3, v23
	ds_read_b64 v[10:11], v7
	ds_read_b64 v[12:13], v8 offset:10240
	v_lshlrev_b32_e32 v14, 3, v29
	v_mov_b32_e32 v15, 0
	s_waitcnt lgkmcnt(1)
	v_lshl_add_u64 v[10:11], v[10:11], 3, s[42:43]
	v_lshl_add_u64 v[10:11], v[10:11], 0, v[14:15]
	s_waitcnt lgkmcnt(0)
	global_store_dwordx2 v[10:11], v[12:13], off
	s_or_b64 exec, exec, s[4:5]
	s_and_saveexec_b64 s[4:5], s[18:19]
	s_cbranch_execz .LBB19_79
.LBB19_134:
	v_lshlrev_b32_e32 v7, 3, v35
	ds_read_b64 v[10:11], v7
	ds_read_b64 v[12:13], v8 offset:18432
	v_lshlrev_b32_e32 v14, 3, v30
	v_mov_b32_e32 v15, 0
	s_waitcnt lgkmcnt(1)
	v_lshl_add_u64 v[10:11], v[10:11], 3, s[42:43]
	v_lshl_add_u64 v[10:11], v[10:11], 0, v[14:15]
	s_waitcnt lgkmcnt(0)
	global_store_dwordx2 v[10:11], v[12:13], off
	s_or_b64 exec, exec, s[4:5]
	s_and_saveexec_b64 s[4:5], s[20:21]
	s_cbranch_execz .LBB19_80
.LBB19_135:
	v_lshlrev_b32_e32 v7, 3, v22
	ds_read_b64 v[10:11], v7
	ds_read_b64 v[12:13], v8 offset:26624
	v_lshlrev_b32_e32 v14, 3, v31
	v_mov_b32_e32 v15, 0
	s_waitcnt lgkmcnt(1)
	v_lshl_add_u64 v[10:11], v[10:11], 3, s[42:43]
	v_lshl_add_u64 v[10:11], v[10:11], 0, v[14:15]
	s_waitcnt lgkmcnt(0)
	global_store_dwordx2 v[10:11], v[12:13], off
	s_or_b64 exec, exec, s[4:5]
	s_and_saveexec_b64 s[4:5], s[22:23]
	s_cbranch_execz .LBB19_81
.LBB19_136:
	v_lshlrev_b32_e32 v7, 3, v34
	ds_read_b64 v[10:11], v7
	ds_read_b64 v[12:13], v8 offset:34816
	v_lshlrev_b32_e32 v14, 3, v32
	v_mov_b32_e32 v15, 0
	s_waitcnt lgkmcnt(1)
	v_lshl_add_u64 v[10:11], v[10:11], 3, s[42:43]
	v_lshl_add_u64 v[10:11], v[10:11], 0, v[14:15]
	s_waitcnt lgkmcnt(0)
	global_store_dwordx2 v[10:11], v[12:13], off
	s_or_b64 exec, exec, s[4:5]
	s_and_saveexec_b64 s[4:5], s[24:25]
	s_cbranch_execnz .LBB19_82
	s_branch .LBB19_83
	.section	.rodata,"a",@progbits
	.p2align	6, 0x0
	.amdhsa_kernel _ZN7rocprim17ROCPRIM_304000_NS6detail25onesweep_iteration_kernelINS1_34wrapped_radix_sort_onesweep_configINS0_14default_configE12hip_bfloat16N2at4cuda3cub6detail10OpaqueTypeILi8EEEEELb0EPS5_SD_PSB_SE_mNS0_19identity_decomposerEEEvT1_T2_T3_T4_jPT5_SL_PNS1_23onesweep_lookback_stateET6_jjj
		.amdhsa_group_segment_fixed_size 51200
		.amdhsa_private_segment_fixed_size 0
		.amdhsa_kernarg_size 336
		.amdhsa_user_sgpr_count 2
		.amdhsa_user_sgpr_dispatch_ptr 0
		.amdhsa_user_sgpr_queue_ptr 0
		.amdhsa_user_sgpr_kernarg_segment_ptr 1
		.amdhsa_user_sgpr_dispatch_id 0
		.amdhsa_user_sgpr_kernarg_preload_length 0
		.amdhsa_user_sgpr_kernarg_preload_offset 0
		.amdhsa_user_sgpr_private_segment_size 0
		.amdhsa_uses_dynamic_stack 0
		.amdhsa_enable_private_segment 0
		.amdhsa_system_sgpr_workgroup_id_x 1
		.amdhsa_system_sgpr_workgroup_id_y 0
		.amdhsa_system_sgpr_workgroup_id_z 0
		.amdhsa_system_sgpr_workgroup_info 0
		.amdhsa_system_vgpr_workitem_id 2
		.amdhsa_next_free_vgpr 56
		.amdhsa_next_free_sgpr 52
		.amdhsa_accum_offset 56
		.amdhsa_reserve_vcc 1
		.amdhsa_float_round_mode_32 0
		.amdhsa_float_round_mode_16_64 0
		.amdhsa_float_denorm_mode_32 3
		.amdhsa_float_denorm_mode_16_64 3
		.amdhsa_dx10_clamp 1
		.amdhsa_ieee_mode 1
		.amdhsa_fp16_overflow 0
		.amdhsa_tg_split 0
		.amdhsa_exception_fp_ieee_invalid_op 0
		.amdhsa_exception_fp_denorm_src 0
		.amdhsa_exception_fp_ieee_div_zero 0
		.amdhsa_exception_fp_ieee_overflow 0
		.amdhsa_exception_fp_ieee_underflow 0
		.amdhsa_exception_fp_ieee_inexact 0
		.amdhsa_exception_int_div_zero 0
	.end_amdhsa_kernel
	.section	.text._ZN7rocprim17ROCPRIM_304000_NS6detail25onesweep_iteration_kernelINS1_34wrapped_radix_sort_onesweep_configINS0_14default_configE12hip_bfloat16N2at4cuda3cub6detail10OpaqueTypeILi8EEEEELb0EPS5_SD_PSB_SE_mNS0_19identity_decomposerEEEvT1_T2_T3_T4_jPT5_SL_PNS1_23onesweep_lookback_stateET6_jjj,"axG",@progbits,_ZN7rocprim17ROCPRIM_304000_NS6detail25onesweep_iteration_kernelINS1_34wrapped_radix_sort_onesweep_configINS0_14default_configE12hip_bfloat16N2at4cuda3cub6detail10OpaqueTypeILi8EEEEELb0EPS5_SD_PSB_SE_mNS0_19identity_decomposerEEEvT1_T2_T3_T4_jPT5_SL_PNS1_23onesweep_lookback_stateET6_jjj,comdat
.Lfunc_end19:
	.size	_ZN7rocprim17ROCPRIM_304000_NS6detail25onesweep_iteration_kernelINS1_34wrapped_radix_sort_onesweep_configINS0_14default_configE12hip_bfloat16N2at4cuda3cub6detail10OpaqueTypeILi8EEEEELb0EPS5_SD_PSB_SE_mNS0_19identity_decomposerEEEvT1_T2_T3_T4_jPT5_SL_PNS1_23onesweep_lookback_stateET6_jjj, .Lfunc_end19-_ZN7rocprim17ROCPRIM_304000_NS6detail25onesweep_iteration_kernelINS1_34wrapped_radix_sort_onesweep_configINS0_14default_configE12hip_bfloat16N2at4cuda3cub6detail10OpaqueTypeILi8EEEEELb0EPS5_SD_PSB_SE_mNS0_19identity_decomposerEEEvT1_T2_T3_T4_jPT5_SL_PNS1_23onesweep_lookback_stateET6_jjj
                                        ; -- End function
	.section	.AMDGPU.csdata,"",@progbits
; Kernel info:
; codeLenInByte = 12196
; NumSgprs: 58
; NumVgprs: 56
; NumAgprs: 0
; TotalNumVgprs: 56
; ScratchSize: 0
; MemoryBound: 0
; FloatMode: 240
; IeeeMode: 1
; LDSByteSize: 51200 bytes/workgroup (compile time only)
; SGPRBlocks: 7
; VGPRBlocks: 6
; NumSGPRsForWavesPerEU: 58
; NumVGPRsForWavesPerEU: 56
; AccumOffset: 56
; Occupancy: 4
; WaveLimiterHint : 1
; COMPUTE_PGM_RSRC2:SCRATCH_EN: 0
; COMPUTE_PGM_RSRC2:USER_SGPR: 2
; COMPUTE_PGM_RSRC2:TRAP_HANDLER: 0
; COMPUTE_PGM_RSRC2:TGID_X_EN: 1
; COMPUTE_PGM_RSRC2:TGID_Y_EN: 0
; COMPUTE_PGM_RSRC2:TGID_Z_EN: 0
; COMPUTE_PGM_RSRC2:TIDIG_COMP_CNT: 2
; COMPUTE_PGM_RSRC3_GFX90A:ACCUM_OFFSET: 13
; COMPUTE_PGM_RSRC3_GFX90A:TG_SPLIT: 0
	.text
	.p2alignl 6, 3212836864
	.fill 256, 4, 3212836864
	.type	__hip_cuid_7773676cce2d89fa,@object ; @__hip_cuid_7773676cce2d89fa
	.section	.bss,"aw",@nobits
	.globl	__hip_cuid_7773676cce2d89fa
__hip_cuid_7773676cce2d89fa:
	.byte	0                               ; 0x0
	.size	__hip_cuid_7773676cce2d89fa, 1

	.ident	"AMD clang version 19.0.0git (https://github.com/RadeonOpenCompute/llvm-project roc-6.4.0 25133 c7fe45cf4b819c5991fe208aaa96edf142730f1d)"
	.section	".note.GNU-stack","",@progbits
	.addrsig
	.addrsig_sym __hip_cuid_7773676cce2d89fa
	.amdgpu_metadata
---
amdhsa.kernels:
  - .agpr_count:     0
    .args:
      - .address_space:  global
        .offset:         0
        .size:           8
        .value_kind:     global_buffer
      - .address_space:  global
        .offset:         8
        .size:           8
        .value_kind:     global_buffer
      - .address_space:  global
        .offset:         16
        .size:           8
        .value_kind:     global_buffer
      - .address_space:  global
        .offset:         24
        .size:           8
        .value_kind:     global_buffer
      - .offset:         32
        .size:           4
        .value_kind:     by_value
      - .offset:         36
        .size:           1
        .value_kind:     by_value
      - .offset:         40
        .size:           4
        .value_kind:     by_value
      - .offset:         44
        .size:           4
        .value_kind:     by_value
      - .offset:         48
        .size:           4
        .value_kind:     hidden_block_count_x
      - .offset:         52
        .size:           4
        .value_kind:     hidden_block_count_y
      - .offset:         56
        .size:           4
        .value_kind:     hidden_block_count_z
      - .offset:         60
        .size:           2
        .value_kind:     hidden_group_size_x
      - .offset:         62
        .size:           2
        .value_kind:     hidden_group_size_y
      - .offset:         64
        .size:           2
        .value_kind:     hidden_group_size_z
      - .offset:         66
        .size:           2
        .value_kind:     hidden_remainder_x
      - .offset:         68
        .size:           2
        .value_kind:     hidden_remainder_y
      - .offset:         70
        .size:           2
        .value_kind:     hidden_remainder_z
      - .offset:         88
        .size:           8
        .value_kind:     hidden_global_offset_x
      - .offset:         96
        .size:           8
        .value_kind:     hidden_global_offset_y
      - .offset:         104
        .size:           8
        .value_kind:     hidden_global_offset_z
      - .offset:         112
        .size:           2
        .value_kind:     hidden_grid_dims
    .group_segment_fixed_size: 8192
    .kernarg_segment_align: 8
    .kernarg_segment_size: 304
    .language:       OpenCL C
    .language_version:
      - 2
      - 0
    .max_flat_workgroup_size: 256
    .name:           _ZN7rocprim17ROCPRIM_304000_NS6detail28radix_sort_block_sort_kernelINS1_36wrapped_radix_sort_block_sort_configINS0_13kernel_configILj256ELj4ELj4294967295EEE12hip_bfloat16N2at4cuda3cub6detail10OpaqueTypeILi8EEEEELb1EPKS6_PS6_PKSC_PSC_NS0_19identity_decomposerEEEvT1_T2_T3_T4_jT5_jj
    .private_segment_fixed_size: 0
    .sgpr_count:     54
    .sgpr_spill_count: 0
    .symbol:         _ZN7rocprim17ROCPRIM_304000_NS6detail28radix_sort_block_sort_kernelINS1_36wrapped_radix_sort_block_sort_configINS0_13kernel_configILj256ELj4ELj4294967295EEE12hip_bfloat16N2at4cuda3cub6detail10OpaqueTypeILi8EEEEELb1EPKS6_PS6_PKSC_PSC_NS0_19identity_decomposerEEEvT1_T2_T3_T4_jT5_jj.kd
    .uniform_work_group_size: 1
    .uses_dynamic_stack: false
    .vgpr_count:     53
    .vgpr_spill_count: 0
    .wavefront_size: 64
  - .agpr_count:     0
    .args:           []
    .group_segment_fixed_size: 0
    .kernarg_segment_align: 4
    .kernarg_segment_size: 0
    .language:       OpenCL C
    .language_version:
      - 2
      - 0
    .max_flat_workgroup_size: 1024
    .name:           _ZN7rocprim17ROCPRIM_304000_NS6detail39device_merge_sort_compile_time_verifierINS1_36wrapped_merge_sort_block_sort_configINS1_28merge_sort_block_sort_configILj256ELj4ELNS0_20block_sort_algorithmE0EEE12hip_bfloat16N2at4cuda3cub6detail10OpaqueTypeILi8EEEEENS1_37wrapped_merge_sort_block_merge_configINS0_14default_configES7_SD_EEEEvv
    .private_segment_fixed_size: 0
    .sgpr_count:     6
    .sgpr_spill_count: 0
    .symbol:         _ZN7rocprim17ROCPRIM_304000_NS6detail39device_merge_sort_compile_time_verifierINS1_36wrapped_merge_sort_block_sort_configINS1_28merge_sort_block_sort_configILj256ELj4ELNS0_20block_sort_algorithmE0EEE12hip_bfloat16N2at4cuda3cub6detail10OpaqueTypeILi8EEEEENS1_37wrapped_merge_sort_block_merge_configINS0_14default_configES7_SD_EEEEvv.kd
    .uniform_work_group_size: 1
    .uses_dynamic_stack: false
    .vgpr_count:     0
    .vgpr_spill_count: 0
    .wavefront_size: 64
  - .agpr_count:     0
    .args:
      - .address_space:  global
        .offset:         0
        .size:           8
        .value_kind:     global_buffer
      - .offset:         8
        .size:           4
        .value_kind:     by_value
      - .offset:         12
        .size:           4
        .value_kind:     by_value
      - .address_space:  global
        .offset:         16
        .size:           8
        .value_kind:     global_buffer
      - .offset:         24
        .size:           1
        .value_kind:     by_value
      - .offset:         28
        .size:           4
        .value_kind:     by_value
    .group_segment_fixed_size: 0
    .kernarg_segment_align: 8
    .kernarg_segment_size: 32
    .language:       OpenCL C
    .language_version:
      - 2
      - 0
    .max_flat_workgroup_size: 128
    .name:           _ZN7rocprim17ROCPRIM_304000_NS6detail45device_block_merge_mergepath_partition_kernelINS1_37wrapped_merge_sort_block_merge_configINS0_14default_configE12hip_bfloat16N2at4cuda3cub6detail10OpaqueTypeILi8EEEEEPS5_jNS1_19radix_merge_compareILb1ELb0ES5_NS0_19identity_decomposerEEEEEvT0_T1_jPSI_T2_SI_
    .private_segment_fixed_size: 0
    .sgpr_count:     14
    .sgpr_spill_count: 0
    .symbol:         _ZN7rocprim17ROCPRIM_304000_NS6detail45device_block_merge_mergepath_partition_kernelINS1_37wrapped_merge_sort_block_merge_configINS0_14default_configE12hip_bfloat16N2at4cuda3cub6detail10OpaqueTypeILi8EEEEEPS5_jNS1_19radix_merge_compareILb1ELb0ES5_NS0_19identity_decomposerEEEEEvT0_T1_jPSI_T2_SI_.kd
    .uniform_work_group_size: 1
    .uses_dynamic_stack: false
    .vgpr_count:     17
    .vgpr_spill_count: 0
    .wavefront_size: 64
  - .agpr_count:     0
    .args:
      - .address_space:  global
        .offset:         0
        .size:           8
        .value_kind:     global_buffer
      - .address_space:  global
        .offset:         8
        .size:           8
        .value_kind:     global_buffer
      - .address_space:  global
        .offset:         16
        .size:           8
        .value_kind:     global_buffer
      - .address_space:  global
        .offset:         24
        .size:           8
        .value_kind:     global_buffer
      - .offset:         32
        .size:           4
        .value_kind:     by_value
      - .offset:         36
        .size:           4
        .value_kind:     by_value
      - .offset:         40
        .size:           4
        .value_kind:     by_value
      - .offset:         44
        .size:           1
        .value_kind:     by_value
      - .address_space:  global
        .offset:         48
        .size:           8
        .value_kind:     global_buffer
      - .address_space:  global
        .offset:         56
        .size:           8
        .value_kind:     global_buffer
      - .offset:         64
        .size:           4
        .value_kind:     hidden_block_count_x
      - .offset:         68
        .size:           4
        .value_kind:     hidden_block_count_y
      - .offset:         72
        .size:           4
        .value_kind:     hidden_block_count_z
      - .offset:         76
        .size:           2
        .value_kind:     hidden_group_size_x
      - .offset:         78
        .size:           2
        .value_kind:     hidden_group_size_y
      - .offset:         80
        .size:           2
        .value_kind:     hidden_group_size_z
      - .offset:         82
        .size:           2
        .value_kind:     hidden_remainder_x
      - .offset:         84
        .size:           2
        .value_kind:     hidden_remainder_y
      - .offset:         86
        .size:           2
        .value_kind:     hidden_remainder_z
      - .offset:         104
        .size:           8
        .value_kind:     hidden_global_offset_x
      - .offset:         112
        .size:           8
        .value_kind:     hidden_global_offset_y
      - .offset:         120
        .size:           8
        .value_kind:     hidden_global_offset_z
      - .offset:         128
        .size:           2
        .value_kind:     hidden_grid_dims
    .group_segment_fixed_size: 8208
    .kernarg_segment_align: 8
    .kernarg_segment_size: 320
    .language:       OpenCL C
    .language_version:
      - 2
      - 0
    .max_flat_workgroup_size: 256
    .name:           _ZN7rocprim17ROCPRIM_304000_NS6detail35device_block_merge_mergepath_kernelINS1_37wrapped_merge_sort_block_merge_configINS0_14default_configE12hip_bfloat16N2at4cuda3cub6detail10OpaqueTypeILi8EEEEEPS5_SD_PSB_SE_jNS1_19radix_merge_compareILb1ELb0ES5_NS0_19identity_decomposerEEEEEvT0_T1_T2_T3_T4_SM_jT5_PKSM_NS1_7vsmem_tE
    .private_segment_fixed_size: 0
    .sgpr_count:     36
    .sgpr_spill_count: 0
    .symbol:         _ZN7rocprim17ROCPRIM_304000_NS6detail35device_block_merge_mergepath_kernelINS1_37wrapped_merge_sort_block_merge_configINS0_14default_configE12hip_bfloat16N2at4cuda3cub6detail10OpaqueTypeILi8EEEEEPS5_SD_PSB_SE_jNS1_19radix_merge_compareILb1ELb0ES5_NS0_19identity_decomposerEEEEEvT0_T1_T2_T3_T4_SM_jT5_PKSM_NS1_7vsmem_tE.kd
    .uniform_work_group_size: 1
    .uses_dynamic_stack: false
    .vgpr_count:     26
    .vgpr_spill_count: 0
    .wavefront_size: 64
  - .agpr_count:     0
    .args:
      - .address_space:  global
        .offset:         0
        .size:           8
        .value_kind:     global_buffer
      - .address_space:  global
        .offset:         8
        .size:           8
        .value_kind:     global_buffer
      - .address_space:  global
        .offset:         16
        .size:           8
        .value_kind:     global_buffer
      - .address_space:  global
        .offset:         24
        .size:           8
        .value_kind:     global_buffer
      - .offset:         32
        .size:           4
        .value_kind:     by_value
      - .offset:         36
        .size:           4
        .value_kind:     by_value
      - .offset:         40
        .size:           1
        .value_kind:     by_value
    .group_segment_fixed_size: 0
    .kernarg_segment_align: 8
    .kernarg_segment_size: 44
    .language:       OpenCL C
    .language_version:
      - 2
      - 0
    .max_flat_workgroup_size: 256
    .name:           _ZN7rocprim17ROCPRIM_304000_NS6detail33device_block_merge_oddeven_kernelINS1_37wrapped_merge_sort_block_merge_configINS0_14default_configE12hip_bfloat16N2at4cuda3cub6detail10OpaqueTypeILi8EEEEEPS5_SD_PSB_SE_jNS1_19radix_merge_compareILb1ELb0ES5_NS0_19identity_decomposerEEEEEvT0_T1_T2_T3_T4_SM_T5_
    .private_segment_fixed_size: 0
    .sgpr_count:     28
    .sgpr_spill_count: 0
    .symbol:         _ZN7rocprim17ROCPRIM_304000_NS6detail33device_block_merge_oddeven_kernelINS1_37wrapped_merge_sort_block_merge_configINS0_14default_configE12hip_bfloat16N2at4cuda3cub6detail10OpaqueTypeILi8EEEEEPS5_SD_PSB_SE_jNS1_19radix_merge_compareILb1ELb0ES5_NS0_19identity_decomposerEEEEEvT0_T1_T2_T3_T4_SM_T5_.kd
    .uniform_work_group_size: 1
    .uses_dynamic_stack: false
    .vgpr_count:     12
    .vgpr_spill_count: 0
    .wavefront_size: 64
  - .agpr_count:     0
    .args:
      - .address_space:  global
        .offset:         0
        .size:           8
        .value_kind:     global_buffer
      - .offset:         8
        .size:           8
        .value_kind:     by_value
      - .address_space:  global
        .offset:         16
        .size:           8
        .value_kind:     global_buffer
      - .offset:         24
        .size:           1
        .value_kind:     by_value
      - .offset:         32
        .size:           4
        .value_kind:     hidden_block_count_x
      - .offset:         36
        .size:           4
        .value_kind:     hidden_block_count_y
      - .offset:         40
        .size:           4
        .value_kind:     hidden_block_count_z
      - .offset:         44
        .size:           2
        .value_kind:     hidden_group_size_x
      - .offset:         46
        .size:           2
        .value_kind:     hidden_group_size_y
      - .offset:         48
        .size:           2
        .value_kind:     hidden_group_size_z
      - .offset:         50
        .size:           2
        .value_kind:     hidden_remainder_x
      - .offset:         52
        .size:           2
        .value_kind:     hidden_remainder_y
      - .offset:         54
        .size:           2
        .value_kind:     hidden_remainder_z
      - .offset:         72
        .size:           8
        .value_kind:     hidden_global_offset_x
      - .offset:         80
        .size:           8
        .value_kind:     hidden_global_offset_y
      - .offset:         88
        .size:           8
        .value_kind:     hidden_global_offset_z
      - .offset:         96
        .size:           2
        .value_kind:     hidden_grid_dims
    .group_segment_fixed_size: 0
    .kernarg_segment_align: 8
    .kernarg_segment_size: 288
    .language:       OpenCL C
    .language_version:
      - 2
      - 0
    .max_flat_workgroup_size: 128
    .name:           _ZN7rocprim17ROCPRIM_304000_NS6detail16transform_kernelINS1_24wrapped_transform_configINS0_14default_configE12hip_bfloat16EES5_PS5_S7_NS0_8identityIS5_EEEEvT1_mT2_T3_
    .private_segment_fixed_size: 0
    .sgpr_count:     44
    .sgpr_spill_count: 0
    .symbol:         _ZN7rocprim17ROCPRIM_304000_NS6detail16transform_kernelINS1_24wrapped_transform_configINS0_14default_configE12hip_bfloat16EES5_PS5_S7_NS0_8identityIS5_EEEEvT1_mT2_T3_.kd
    .uniform_work_group_size: 1
    .uses_dynamic_stack: false
    .vgpr_count:     22
    .vgpr_spill_count: 0
    .wavefront_size: 64
  - .agpr_count:     0
    .args:
      - .address_space:  global
        .offset:         0
        .size:           8
        .value_kind:     global_buffer
      - .offset:         8
        .size:           8
        .value_kind:     by_value
      - .address_space:  global
        .offset:         16
        .size:           8
        .value_kind:     global_buffer
      - .offset:         24
        .size:           1
        .value_kind:     by_value
      - .offset:         32
        .size:           4
        .value_kind:     hidden_block_count_x
      - .offset:         36
        .size:           4
        .value_kind:     hidden_block_count_y
      - .offset:         40
        .size:           4
        .value_kind:     hidden_block_count_z
      - .offset:         44
        .size:           2
        .value_kind:     hidden_group_size_x
      - .offset:         46
        .size:           2
        .value_kind:     hidden_group_size_y
      - .offset:         48
        .size:           2
        .value_kind:     hidden_group_size_z
      - .offset:         50
        .size:           2
        .value_kind:     hidden_remainder_x
      - .offset:         52
        .size:           2
        .value_kind:     hidden_remainder_y
      - .offset:         54
        .size:           2
        .value_kind:     hidden_remainder_z
      - .offset:         72
        .size:           8
        .value_kind:     hidden_global_offset_x
      - .offset:         80
        .size:           8
        .value_kind:     hidden_global_offset_y
      - .offset:         88
        .size:           8
        .value_kind:     hidden_global_offset_z
      - .offset:         96
        .size:           2
        .value_kind:     hidden_grid_dims
    .group_segment_fixed_size: 0
    .kernarg_segment_align: 8
    .kernarg_segment_size: 288
    .language:       OpenCL C
    .language_version:
      - 2
      - 0
    .max_flat_workgroup_size: 256
    .name:           _ZN7rocprim17ROCPRIM_304000_NS6detail16transform_kernelINS1_24wrapped_transform_configINS0_14default_configEN2at4cuda3cub6detail10OpaqueTypeILi8EEEEESA_PSA_SC_NS0_8identityISA_EEEEvT1_mT2_T3_
    .private_segment_fixed_size: 0
    .sgpr_count:     18
    .sgpr_spill_count: 0
    .symbol:         _ZN7rocprim17ROCPRIM_304000_NS6detail16transform_kernelINS1_24wrapped_transform_configINS0_14default_configEN2at4cuda3cub6detail10OpaqueTypeILi8EEEEESA_PSA_SC_NS0_8identityISA_EEEEvT1_mT2_T3_.kd
    .uniform_work_group_size: 1
    .uses_dynamic_stack: false
    .vgpr_count:     10
    .vgpr_spill_count: 0
    .wavefront_size: 64
  - .agpr_count:     0
    .args:
      - .address_space:  global
        .offset:         0
        .size:           8
        .value_kind:     global_buffer
      - .address_space:  global
        .offset:         8
        .size:           8
        .value_kind:     global_buffer
      - .offset:         16
        .size:           8
        .value_kind:     by_value
      - .offset:         24
        .size:           8
        .value_kind:     by_value
      - .offset:         32
        .size:           1
        .value_kind:     by_value
      - .offset:         36
        .size:           4
        .value_kind:     by_value
      - .offset:         40
        .size:           4
        .value_kind:     by_value
    .group_segment_fixed_size: 8192
    .kernarg_segment_align: 8
    .kernarg_segment_size: 44
    .language:       OpenCL C
    .language_version:
      - 2
      - 0
    .max_flat_workgroup_size: 1024
    .name:           _ZN7rocprim17ROCPRIM_304000_NS6detail26onesweep_histograms_kernelINS1_34wrapped_radix_sort_onesweep_configINS0_14default_configE12hip_bfloat16N2at4cuda3cub6detail10OpaqueTypeILi8EEEEELb1EPKS5_mNS0_19identity_decomposerEEEvT1_PT2_SH_SH_T3_jj
    .private_segment_fixed_size: 0
    .sgpr_count:     85
    .sgpr_spill_count: 0
    .symbol:         _ZN7rocprim17ROCPRIM_304000_NS6detail26onesweep_histograms_kernelINS1_34wrapped_radix_sort_onesweep_configINS0_14default_configE12hip_bfloat16N2at4cuda3cub6detail10OpaqueTypeILi8EEEEELb1EPKS5_mNS0_19identity_decomposerEEEvT1_PT2_SH_SH_T3_jj.kd
    .uniform_work_group_size: 1
    .uses_dynamic_stack: false
    .vgpr_count:     46
    .vgpr_spill_count: 0
    .wavefront_size: 64
  - .agpr_count:     0
    .args:
      - .address_space:  global
        .offset:         0
        .size:           8
        .value_kind:     global_buffer
    .group_segment_fixed_size: 128
    .kernarg_segment_align: 8
    .kernarg_segment_size: 8
    .language:       OpenCL C
    .language_version:
      - 2
      - 0
    .max_flat_workgroup_size: 1024
    .name:           _ZN7rocprim17ROCPRIM_304000_NS6detail31onesweep_scan_histograms_kernelINS1_34wrapped_radix_sort_onesweep_configINS0_14default_configE12hip_bfloat16N2at4cuda3cub6detail10OpaqueTypeILi8EEEEEmEEvPT0_
    .private_segment_fixed_size: 0
    .sgpr_count:     24
    .sgpr_spill_count: 0
    .symbol:         _ZN7rocprim17ROCPRIM_304000_NS6detail31onesweep_scan_histograms_kernelINS1_34wrapped_radix_sort_onesweep_configINS0_14default_configE12hip_bfloat16N2at4cuda3cub6detail10OpaqueTypeILi8EEEEEmEEvPT0_.kd
    .uniform_work_group_size: 1
    .uses_dynamic_stack: false
    .vgpr_count:     16
    .vgpr_spill_count: 0
    .wavefront_size: 64
  - .agpr_count:     0
    .args:
      - .address_space:  global
        .offset:         0
        .size:           8
        .value_kind:     global_buffer
      - .offset:         8
        .size:           8
        .value_kind:     by_value
      - .address_space:  global
        .offset:         16
        .size:           8
        .value_kind:     global_buffer
      - .offset:         24
        .size:           1
        .value_kind:     by_value
      - .offset:         32
        .size:           4
        .value_kind:     hidden_block_count_x
      - .offset:         36
        .size:           4
        .value_kind:     hidden_block_count_y
      - .offset:         40
        .size:           4
        .value_kind:     hidden_block_count_z
      - .offset:         44
        .size:           2
        .value_kind:     hidden_group_size_x
      - .offset:         46
        .size:           2
        .value_kind:     hidden_group_size_y
      - .offset:         48
        .size:           2
        .value_kind:     hidden_group_size_z
      - .offset:         50
        .size:           2
        .value_kind:     hidden_remainder_x
      - .offset:         52
        .size:           2
        .value_kind:     hidden_remainder_y
      - .offset:         54
        .size:           2
        .value_kind:     hidden_remainder_z
      - .offset:         72
        .size:           8
        .value_kind:     hidden_global_offset_x
      - .offset:         80
        .size:           8
        .value_kind:     hidden_global_offset_y
      - .offset:         88
        .size:           8
        .value_kind:     hidden_global_offset_z
      - .offset:         96
        .size:           2
        .value_kind:     hidden_grid_dims
    .group_segment_fixed_size: 0
    .kernarg_segment_align: 8
    .kernarg_segment_size: 288
    .language:       OpenCL C
    .language_version:
      - 2
      - 0
    .max_flat_workgroup_size: 128
    .name:           _ZN7rocprim17ROCPRIM_304000_NS6detail16transform_kernelINS1_24wrapped_transform_configINS0_14default_configE12hip_bfloat16EES5_PKS5_PS5_NS0_8identityIS5_EEEEvT1_mT2_T3_
    .private_segment_fixed_size: 0
    .sgpr_count:     44
    .sgpr_spill_count: 0
    .symbol:         _ZN7rocprim17ROCPRIM_304000_NS6detail16transform_kernelINS1_24wrapped_transform_configINS0_14default_configE12hip_bfloat16EES5_PKS5_PS5_NS0_8identityIS5_EEEEvT1_mT2_T3_.kd
    .uniform_work_group_size: 1
    .uses_dynamic_stack: false
    .vgpr_count:     22
    .vgpr_spill_count: 0
    .wavefront_size: 64
  - .agpr_count:     0
    .args:
      - .address_space:  global
        .offset:         0
        .size:           8
        .value_kind:     global_buffer
      - .offset:         8
        .size:           8
        .value_kind:     by_value
      - .address_space:  global
        .offset:         16
        .size:           8
        .value_kind:     global_buffer
      - .offset:         24
        .size:           1
        .value_kind:     by_value
      - .offset:         32
        .size:           4
        .value_kind:     hidden_block_count_x
      - .offset:         36
        .size:           4
        .value_kind:     hidden_block_count_y
      - .offset:         40
        .size:           4
        .value_kind:     hidden_block_count_z
      - .offset:         44
        .size:           2
        .value_kind:     hidden_group_size_x
      - .offset:         46
        .size:           2
        .value_kind:     hidden_group_size_y
      - .offset:         48
        .size:           2
        .value_kind:     hidden_group_size_z
      - .offset:         50
        .size:           2
        .value_kind:     hidden_remainder_x
      - .offset:         52
        .size:           2
        .value_kind:     hidden_remainder_y
      - .offset:         54
        .size:           2
        .value_kind:     hidden_remainder_z
      - .offset:         72
        .size:           8
        .value_kind:     hidden_global_offset_x
      - .offset:         80
        .size:           8
        .value_kind:     hidden_global_offset_y
      - .offset:         88
        .size:           8
        .value_kind:     hidden_global_offset_z
      - .offset:         96
        .size:           2
        .value_kind:     hidden_grid_dims
    .group_segment_fixed_size: 0
    .kernarg_segment_align: 8
    .kernarg_segment_size: 288
    .language:       OpenCL C
    .language_version:
      - 2
      - 0
    .max_flat_workgroup_size: 256
    .name:           _ZN7rocprim17ROCPRIM_304000_NS6detail16transform_kernelINS1_24wrapped_transform_configINS0_14default_configEN2at4cuda3cub6detail10OpaqueTypeILi8EEEEESA_PKSA_PSA_NS0_8identityISA_EEEEvT1_mT2_T3_
    .private_segment_fixed_size: 0
    .sgpr_count:     18
    .sgpr_spill_count: 0
    .symbol:         _ZN7rocprim17ROCPRIM_304000_NS6detail16transform_kernelINS1_24wrapped_transform_configINS0_14default_configEN2at4cuda3cub6detail10OpaqueTypeILi8EEEEESA_PKSA_PSA_NS0_8identityISA_EEEEvT1_mT2_T3_.kd
    .uniform_work_group_size: 1
    .uses_dynamic_stack: false
    .vgpr_count:     10
    .vgpr_spill_count: 0
    .wavefront_size: 64
  - .agpr_count:     0
    .args:
      - .address_space:  global
        .offset:         0
        .size:           8
        .value_kind:     global_buffer
      - .address_space:  global
        .offset:         8
        .size:           8
        .value_kind:     global_buffer
      - .address_space:  global
        .offset:         16
        .size:           8
        .value_kind:     global_buffer
      - .address_space:  global
        .offset:         24
        .size:           8
        .value_kind:     global_buffer
      - .offset:         32
        .size:           4
        .value_kind:     by_value
      - .address_space:  global
        .offset:         40
        .size:           8
        .value_kind:     global_buffer
      - .address_space:  global
        .offset:         48
        .size:           8
        .value_kind:     global_buffer
      - .address_space:  global
        .offset:         56
        .size:           8
        .value_kind:     global_buffer
      - .offset:         64
        .size:           1
        .value_kind:     by_value
      - .offset:         68
        .size:           4
        .value_kind:     by_value
      - .offset:         72
        .size:           4
        .value_kind:     by_value
      - .offset:         76
        .size:           4
        .value_kind:     by_value
      - .offset:         80
        .size:           4
        .value_kind:     hidden_block_count_x
      - .offset:         84
        .size:           4
        .value_kind:     hidden_block_count_y
      - .offset:         88
        .size:           4
        .value_kind:     hidden_block_count_z
      - .offset:         92
        .size:           2
        .value_kind:     hidden_group_size_x
      - .offset:         94
        .size:           2
        .value_kind:     hidden_group_size_y
      - .offset:         96
        .size:           2
        .value_kind:     hidden_group_size_z
      - .offset:         98
        .size:           2
        .value_kind:     hidden_remainder_x
      - .offset:         100
        .size:           2
        .value_kind:     hidden_remainder_y
      - .offset:         102
        .size:           2
        .value_kind:     hidden_remainder_z
      - .offset:         120
        .size:           8
        .value_kind:     hidden_global_offset_x
      - .offset:         128
        .size:           8
        .value_kind:     hidden_global_offset_y
      - .offset:         136
        .size:           8
        .value_kind:     hidden_global_offset_z
      - .offset:         144
        .size:           2
        .value_kind:     hidden_grid_dims
    .group_segment_fixed_size: 51200
    .kernarg_segment_align: 8
    .kernarg_segment_size: 336
    .language:       OpenCL C
    .language_version:
      - 2
      - 0
    .max_flat_workgroup_size: 1024
    .name:           _ZN7rocprim17ROCPRIM_304000_NS6detail25onesweep_iteration_kernelINS1_34wrapped_radix_sort_onesweep_configINS0_14default_configE12hip_bfloat16N2at4cuda3cub6detail10OpaqueTypeILi8EEEEELb1EPKS5_PS5_PKSB_PSB_mNS0_19identity_decomposerEEEvT1_T2_T3_T4_jPT5_SP_PNS1_23onesweep_lookback_stateET6_jjj
    .private_segment_fixed_size: 0
    .sgpr_count:     58
    .sgpr_spill_count: 0
    .symbol:         _ZN7rocprim17ROCPRIM_304000_NS6detail25onesweep_iteration_kernelINS1_34wrapped_radix_sort_onesweep_configINS0_14default_configE12hip_bfloat16N2at4cuda3cub6detail10OpaqueTypeILi8EEEEELb1EPKS5_PS5_PKSB_PSB_mNS0_19identity_decomposerEEEvT1_T2_T3_T4_jPT5_SP_PNS1_23onesweep_lookback_stateET6_jjj.kd
    .uniform_work_group_size: 1
    .uses_dynamic_stack: false
    .vgpr_count:     56
    .vgpr_spill_count: 0
    .wavefront_size: 64
  - .agpr_count:     0
    .args:
      - .address_space:  global
        .offset:         0
        .size:           8
        .value_kind:     global_buffer
      - .address_space:  global
        .offset:         8
        .size:           8
        .value_kind:     global_buffer
      - .address_space:  global
        .offset:         16
        .size:           8
        .value_kind:     global_buffer
      - .address_space:  global
        .offset:         24
        .size:           8
        .value_kind:     global_buffer
      - .offset:         32
        .size:           4
        .value_kind:     by_value
      - .address_space:  global
        .offset:         40
        .size:           8
        .value_kind:     global_buffer
      - .address_space:  global
        .offset:         48
        .size:           8
        .value_kind:     global_buffer
      - .address_space:  global
        .offset:         56
        .size:           8
        .value_kind:     global_buffer
      - .offset:         64
        .size:           1
        .value_kind:     by_value
      - .offset:         68
        .size:           4
        .value_kind:     by_value
      - .offset:         72
        .size:           4
        .value_kind:     by_value
      - .offset:         76
        .size:           4
        .value_kind:     by_value
      - .offset:         80
        .size:           4
        .value_kind:     hidden_block_count_x
      - .offset:         84
        .size:           4
        .value_kind:     hidden_block_count_y
      - .offset:         88
        .size:           4
        .value_kind:     hidden_block_count_z
      - .offset:         92
        .size:           2
        .value_kind:     hidden_group_size_x
      - .offset:         94
        .size:           2
        .value_kind:     hidden_group_size_y
      - .offset:         96
        .size:           2
        .value_kind:     hidden_group_size_z
      - .offset:         98
        .size:           2
        .value_kind:     hidden_remainder_x
      - .offset:         100
        .size:           2
        .value_kind:     hidden_remainder_y
      - .offset:         102
        .size:           2
        .value_kind:     hidden_remainder_z
      - .offset:         120
        .size:           8
        .value_kind:     hidden_global_offset_x
      - .offset:         128
        .size:           8
        .value_kind:     hidden_global_offset_y
      - .offset:         136
        .size:           8
        .value_kind:     hidden_global_offset_z
      - .offset:         144
        .size:           2
        .value_kind:     hidden_grid_dims
    .group_segment_fixed_size: 51200
    .kernarg_segment_align: 8
    .kernarg_segment_size: 336
    .language:       OpenCL C
    .language_version:
      - 2
      - 0
    .max_flat_workgroup_size: 1024
    .name:           _ZN7rocprim17ROCPRIM_304000_NS6detail25onesweep_iteration_kernelINS1_34wrapped_radix_sort_onesweep_configINS0_14default_configE12hip_bfloat16N2at4cuda3cub6detail10OpaqueTypeILi8EEEEELb1EPS5_SD_PSB_SE_mNS0_19identity_decomposerEEEvT1_T2_T3_T4_jPT5_SL_PNS1_23onesweep_lookback_stateET6_jjj
    .private_segment_fixed_size: 0
    .sgpr_count:     58
    .sgpr_spill_count: 0
    .symbol:         _ZN7rocprim17ROCPRIM_304000_NS6detail25onesweep_iteration_kernelINS1_34wrapped_radix_sort_onesweep_configINS0_14default_configE12hip_bfloat16N2at4cuda3cub6detail10OpaqueTypeILi8EEEEELb1EPS5_SD_PSB_SE_mNS0_19identity_decomposerEEEvT1_T2_T3_T4_jPT5_SL_PNS1_23onesweep_lookback_stateET6_jjj.kd
    .uniform_work_group_size: 1
    .uses_dynamic_stack: false
    .vgpr_count:     56
    .vgpr_spill_count: 0
    .wavefront_size: 64
  - .agpr_count:     0
    .args:
      - .address_space:  global
        .offset:         0
        .size:           8
        .value_kind:     global_buffer
      - .address_space:  global
        .offset:         8
        .size:           8
        .value_kind:     global_buffer
      - .address_space:  global
        .offset:         16
        .size:           8
        .value_kind:     global_buffer
      - .address_space:  global
        .offset:         24
        .size:           8
        .value_kind:     global_buffer
      - .offset:         32
        .size:           4
        .value_kind:     by_value
      - .offset:         36
        .size:           1
        .value_kind:     by_value
      - .offset:         40
        .size:           4
        .value_kind:     by_value
      - .offset:         44
        .size:           4
        .value_kind:     by_value
      - .offset:         48
        .size:           4
        .value_kind:     hidden_block_count_x
      - .offset:         52
        .size:           4
        .value_kind:     hidden_block_count_y
      - .offset:         56
        .size:           4
        .value_kind:     hidden_block_count_z
      - .offset:         60
        .size:           2
        .value_kind:     hidden_group_size_x
      - .offset:         62
        .size:           2
        .value_kind:     hidden_group_size_y
      - .offset:         64
        .size:           2
        .value_kind:     hidden_group_size_z
      - .offset:         66
        .size:           2
        .value_kind:     hidden_remainder_x
      - .offset:         68
        .size:           2
        .value_kind:     hidden_remainder_y
      - .offset:         70
        .size:           2
        .value_kind:     hidden_remainder_z
      - .offset:         88
        .size:           8
        .value_kind:     hidden_global_offset_x
      - .offset:         96
        .size:           8
        .value_kind:     hidden_global_offset_y
      - .offset:         104
        .size:           8
        .value_kind:     hidden_global_offset_z
      - .offset:         112
        .size:           2
        .value_kind:     hidden_grid_dims
    .group_segment_fixed_size: 8192
    .kernarg_segment_align: 8
    .kernarg_segment_size: 304
    .language:       OpenCL C
    .language_version:
      - 2
      - 0
    .max_flat_workgroup_size: 256
    .name:           _ZN7rocprim17ROCPRIM_304000_NS6detail28radix_sort_block_sort_kernelINS1_36wrapped_radix_sort_block_sort_configINS0_13kernel_configILj256ELj4ELj4294967295EEE12hip_bfloat16N2at4cuda3cub6detail10OpaqueTypeILi8EEEEELb0EPKS6_PS6_PKSC_PSC_NS0_19identity_decomposerEEEvT1_T2_T3_T4_jT5_jj
    .private_segment_fixed_size: 0
    .sgpr_count:     54
    .sgpr_spill_count: 0
    .symbol:         _ZN7rocprim17ROCPRIM_304000_NS6detail28radix_sort_block_sort_kernelINS1_36wrapped_radix_sort_block_sort_configINS0_13kernel_configILj256ELj4ELj4294967295EEE12hip_bfloat16N2at4cuda3cub6detail10OpaqueTypeILi8EEEEELb0EPKS6_PS6_PKSC_PSC_NS0_19identity_decomposerEEEvT1_T2_T3_T4_jT5_jj.kd
    .uniform_work_group_size: 1
    .uses_dynamic_stack: false
    .vgpr_count:     53
    .vgpr_spill_count: 0
    .wavefront_size: 64
  - .agpr_count:     0
    .args:
      - .address_space:  global
        .offset:         0
        .size:           8
        .value_kind:     global_buffer
      - .offset:         8
        .size:           4
        .value_kind:     by_value
      - .offset:         12
        .size:           4
        .value_kind:     by_value
      - .address_space:  global
        .offset:         16
        .size:           8
        .value_kind:     global_buffer
      - .offset:         24
        .size:           1
        .value_kind:     by_value
      - .offset:         28
        .size:           4
        .value_kind:     by_value
    .group_segment_fixed_size: 0
    .kernarg_segment_align: 8
    .kernarg_segment_size: 32
    .language:       OpenCL C
    .language_version:
      - 2
      - 0
    .max_flat_workgroup_size: 128
    .name:           _ZN7rocprim17ROCPRIM_304000_NS6detail45device_block_merge_mergepath_partition_kernelINS1_37wrapped_merge_sort_block_merge_configINS0_14default_configE12hip_bfloat16N2at4cuda3cub6detail10OpaqueTypeILi8EEEEEPS5_jNS1_19radix_merge_compareILb0ELb0ES5_NS0_19identity_decomposerEEEEEvT0_T1_jPSI_T2_SI_
    .private_segment_fixed_size: 0
    .sgpr_count:     14
    .sgpr_spill_count: 0
    .symbol:         _ZN7rocprim17ROCPRIM_304000_NS6detail45device_block_merge_mergepath_partition_kernelINS1_37wrapped_merge_sort_block_merge_configINS0_14default_configE12hip_bfloat16N2at4cuda3cub6detail10OpaqueTypeILi8EEEEEPS5_jNS1_19radix_merge_compareILb0ELb0ES5_NS0_19identity_decomposerEEEEEvT0_T1_jPSI_T2_SI_.kd
    .uniform_work_group_size: 1
    .uses_dynamic_stack: false
    .vgpr_count:     17
    .vgpr_spill_count: 0
    .wavefront_size: 64
  - .agpr_count:     0
    .args:
      - .address_space:  global
        .offset:         0
        .size:           8
        .value_kind:     global_buffer
      - .address_space:  global
        .offset:         8
        .size:           8
        .value_kind:     global_buffer
      - .address_space:  global
        .offset:         16
        .size:           8
        .value_kind:     global_buffer
      - .address_space:  global
        .offset:         24
        .size:           8
        .value_kind:     global_buffer
      - .offset:         32
        .size:           4
        .value_kind:     by_value
      - .offset:         36
        .size:           4
        .value_kind:     by_value
      - .offset:         40
        .size:           4
        .value_kind:     by_value
      - .offset:         44
        .size:           1
        .value_kind:     by_value
      - .address_space:  global
        .offset:         48
        .size:           8
        .value_kind:     global_buffer
      - .address_space:  global
        .offset:         56
        .size:           8
        .value_kind:     global_buffer
      - .offset:         64
        .size:           4
        .value_kind:     hidden_block_count_x
      - .offset:         68
        .size:           4
        .value_kind:     hidden_block_count_y
      - .offset:         72
        .size:           4
        .value_kind:     hidden_block_count_z
      - .offset:         76
        .size:           2
        .value_kind:     hidden_group_size_x
      - .offset:         78
        .size:           2
        .value_kind:     hidden_group_size_y
      - .offset:         80
        .size:           2
        .value_kind:     hidden_group_size_z
      - .offset:         82
        .size:           2
        .value_kind:     hidden_remainder_x
      - .offset:         84
        .size:           2
        .value_kind:     hidden_remainder_y
      - .offset:         86
        .size:           2
        .value_kind:     hidden_remainder_z
      - .offset:         104
        .size:           8
        .value_kind:     hidden_global_offset_x
      - .offset:         112
        .size:           8
        .value_kind:     hidden_global_offset_y
      - .offset:         120
        .size:           8
        .value_kind:     hidden_global_offset_z
      - .offset:         128
        .size:           2
        .value_kind:     hidden_grid_dims
    .group_segment_fixed_size: 8208
    .kernarg_segment_align: 8
    .kernarg_segment_size: 320
    .language:       OpenCL C
    .language_version:
      - 2
      - 0
    .max_flat_workgroup_size: 256
    .name:           _ZN7rocprim17ROCPRIM_304000_NS6detail35device_block_merge_mergepath_kernelINS1_37wrapped_merge_sort_block_merge_configINS0_14default_configE12hip_bfloat16N2at4cuda3cub6detail10OpaqueTypeILi8EEEEEPS5_SD_PSB_SE_jNS1_19radix_merge_compareILb0ELb0ES5_NS0_19identity_decomposerEEEEEvT0_T1_T2_T3_T4_SM_jT5_PKSM_NS1_7vsmem_tE
    .private_segment_fixed_size: 0
    .sgpr_count:     36
    .sgpr_spill_count: 0
    .symbol:         _ZN7rocprim17ROCPRIM_304000_NS6detail35device_block_merge_mergepath_kernelINS1_37wrapped_merge_sort_block_merge_configINS0_14default_configE12hip_bfloat16N2at4cuda3cub6detail10OpaqueTypeILi8EEEEEPS5_SD_PSB_SE_jNS1_19radix_merge_compareILb0ELb0ES5_NS0_19identity_decomposerEEEEEvT0_T1_T2_T3_T4_SM_jT5_PKSM_NS1_7vsmem_tE.kd
    .uniform_work_group_size: 1
    .uses_dynamic_stack: false
    .vgpr_count:     26
    .vgpr_spill_count: 0
    .wavefront_size: 64
  - .agpr_count:     0
    .args:
      - .address_space:  global
        .offset:         0
        .size:           8
        .value_kind:     global_buffer
      - .address_space:  global
        .offset:         8
        .size:           8
        .value_kind:     global_buffer
      - .address_space:  global
        .offset:         16
        .size:           8
        .value_kind:     global_buffer
      - .address_space:  global
        .offset:         24
        .size:           8
        .value_kind:     global_buffer
      - .offset:         32
        .size:           4
        .value_kind:     by_value
      - .offset:         36
        .size:           4
        .value_kind:     by_value
      - .offset:         40
        .size:           1
        .value_kind:     by_value
    .group_segment_fixed_size: 0
    .kernarg_segment_align: 8
    .kernarg_segment_size: 44
    .language:       OpenCL C
    .language_version:
      - 2
      - 0
    .max_flat_workgroup_size: 256
    .name:           _ZN7rocprim17ROCPRIM_304000_NS6detail33device_block_merge_oddeven_kernelINS1_37wrapped_merge_sort_block_merge_configINS0_14default_configE12hip_bfloat16N2at4cuda3cub6detail10OpaqueTypeILi8EEEEEPS5_SD_PSB_SE_jNS1_19radix_merge_compareILb0ELb0ES5_NS0_19identity_decomposerEEEEEvT0_T1_T2_T3_T4_SM_T5_
    .private_segment_fixed_size: 0
    .sgpr_count:     28
    .sgpr_spill_count: 0
    .symbol:         _ZN7rocprim17ROCPRIM_304000_NS6detail33device_block_merge_oddeven_kernelINS1_37wrapped_merge_sort_block_merge_configINS0_14default_configE12hip_bfloat16N2at4cuda3cub6detail10OpaqueTypeILi8EEEEEPS5_SD_PSB_SE_jNS1_19radix_merge_compareILb0ELb0ES5_NS0_19identity_decomposerEEEEEvT0_T1_T2_T3_T4_SM_T5_.kd
    .uniform_work_group_size: 1
    .uses_dynamic_stack: false
    .vgpr_count:     12
    .vgpr_spill_count: 0
    .wavefront_size: 64
  - .agpr_count:     0
    .args:
      - .address_space:  global
        .offset:         0
        .size:           8
        .value_kind:     global_buffer
      - .address_space:  global
        .offset:         8
        .size:           8
        .value_kind:     global_buffer
      - .offset:         16
        .size:           8
        .value_kind:     by_value
      - .offset:         24
        .size:           8
        .value_kind:     by_value
      - .offset:         32
        .size:           1
        .value_kind:     by_value
      - .offset:         36
        .size:           4
        .value_kind:     by_value
      - .offset:         40
        .size:           4
        .value_kind:     by_value
    .group_segment_fixed_size: 8192
    .kernarg_segment_align: 8
    .kernarg_segment_size: 44
    .language:       OpenCL C
    .language_version:
      - 2
      - 0
    .max_flat_workgroup_size: 1024
    .name:           _ZN7rocprim17ROCPRIM_304000_NS6detail26onesweep_histograms_kernelINS1_34wrapped_radix_sort_onesweep_configINS0_14default_configE12hip_bfloat16N2at4cuda3cub6detail10OpaqueTypeILi8EEEEELb0EPKS5_mNS0_19identity_decomposerEEEvT1_PT2_SH_SH_T3_jj
    .private_segment_fixed_size: 0
    .sgpr_count:     85
    .sgpr_spill_count: 0
    .symbol:         _ZN7rocprim17ROCPRIM_304000_NS6detail26onesweep_histograms_kernelINS1_34wrapped_radix_sort_onesweep_configINS0_14default_configE12hip_bfloat16N2at4cuda3cub6detail10OpaqueTypeILi8EEEEELb0EPKS5_mNS0_19identity_decomposerEEEvT1_PT2_SH_SH_T3_jj.kd
    .uniform_work_group_size: 1
    .uses_dynamic_stack: false
    .vgpr_count:     46
    .vgpr_spill_count: 0
    .wavefront_size: 64
  - .agpr_count:     0
    .args:
      - .address_space:  global
        .offset:         0
        .size:           8
        .value_kind:     global_buffer
      - .address_space:  global
        .offset:         8
        .size:           8
        .value_kind:     global_buffer
      - .address_space:  global
        .offset:         16
        .size:           8
        .value_kind:     global_buffer
      - .address_space:  global
        .offset:         24
        .size:           8
        .value_kind:     global_buffer
      - .offset:         32
        .size:           4
        .value_kind:     by_value
      - .address_space:  global
        .offset:         40
        .size:           8
        .value_kind:     global_buffer
      - .address_space:  global
        .offset:         48
        .size:           8
        .value_kind:     global_buffer
      - .address_space:  global
        .offset:         56
        .size:           8
        .value_kind:     global_buffer
      - .offset:         64
        .size:           1
        .value_kind:     by_value
      - .offset:         68
        .size:           4
        .value_kind:     by_value
      - .offset:         72
        .size:           4
        .value_kind:     by_value
      - .offset:         76
        .size:           4
        .value_kind:     by_value
      - .offset:         80
        .size:           4
        .value_kind:     hidden_block_count_x
      - .offset:         84
        .size:           4
        .value_kind:     hidden_block_count_y
      - .offset:         88
        .size:           4
        .value_kind:     hidden_block_count_z
      - .offset:         92
        .size:           2
        .value_kind:     hidden_group_size_x
      - .offset:         94
        .size:           2
        .value_kind:     hidden_group_size_y
      - .offset:         96
        .size:           2
        .value_kind:     hidden_group_size_z
      - .offset:         98
        .size:           2
        .value_kind:     hidden_remainder_x
      - .offset:         100
        .size:           2
        .value_kind:     hidden_remainder_y
      - .offset:         102
        .size:           2
        .value_kind:     hidden_remainder_z
      - .offset:         120
        .size:           8
        .value_kind:     hidden_global_offset_x
      - .offset:         128
        .size:           8
        .value_kind:     hidden_global_offset_y
      - .offset:         136
        .size:           8
        .value_kind:     hidden_global_offset_z
      - .offset:         144
        .size:           2
        .value_kind:     hidden_grid_dims
    .group_segment_fixed_size: 51200
    .kernarg_segment_align: 8
    .kernarg_segment_size: 336
    .language:       OpenCL C
    .language_version:
      - 2
      - 0
    .max_flat_workgroup_size: 1024
    .name:           _ZN7rocprim17ROCPRIM_304000_NS6detail25onesweep_iteration_kernelINS1_34wrapped_radix_sort_onesweep_configINS0_14default_configE12hip_bfloat16N2at4cuda3cub6detail10OpaqueTypeILi8EEEEELb0EPKS5_PS5_PKSB_PSB_mNS0_19identity_decomposerEEEvT1_T2_T3_T4_jPT5_SP_PNS1_23onesweep_lookback_stateET6_jjj
    .private_segment_fixed_size: 0
    .sgpr_count:     58
    .sgpr_spill_count: 0
    .symbol:         _ZN7rocprim17ROCPRIM_304000_NS6detail25onesweep_iteration_kernelINS1_34wrapped_radix_sort_onesweep_configINS0_14default_configE12hip_bfloat16N2at4cuda3cub6detail10OpaqueTypeILi8EEEEELb0EPKS5_PS5_PKSB_PSB_mNS0_19identity_decomposerEEEvT1_T2_T3_T4_jPT5_SP_PNS1_23onesweep_lookback_stateET6_jjj.kd
    .uniform_work_group_size: 1
    .uses_dynamic_stack: false
    .vgpr_count:     56
    .vgpr_spill_count: 0
    .wavefront_size: 64
  - .agpr_count:     0
    .args:
      - .address_space:  global
        .offset:         0
        .size:           8
        .value_kind:     global_buffer
      - .address_space:  global
        .offset:         8
        .size:           8
        .value_kind:     global_buffer
      - .address_space:  global
        .offset:         16
        .size:           8
        .value_kind:     global_buffer
      - .address_space:  global
        .offset:         24
        .size:           8
        .value_kind:     global_buffer
      - .offset:         32
        .size:           4
        .value_kind:     by_value
      - .address_space:  global
        .offset:         40
        .size:           8
        .value_kind:     global_buffer
      - .address_space:  global
        .offset:         48
        .size:           8
        .value_kind:     global_buffer
      - .address_space:  global
        .offset:         56
        .size:           8
        .value_kind:     global_buffer
      - .offset:         64
        .size:           1
        .value_kind:     by_value
      - .offset:         68
        .size:           4
        .value_kind:     by_value
      - .offset:         72
        .size:           4
        .value_kind:     by_value
      - .offset:         76
        .size:           4
        .value_kind:     by_value
      - .offset:         80
        .size:           4
        .value_kind:     hidden_block_count_x
      - .offset:         84
        .size:           4
        .value_kind:     hidden_block_count_y
      - .offset:         88
        .size:           4
        .value_kind:     hidden_block_count_z
      - .offset:         92
        .size:           2
        .value_kind:     hidden_group_size_x
      - .offset:         94
        .size:           2
        .value_kind:     hidden_group_size_y
      - .offset:         96
        .size:           2
        .value_kind:     hidden_group_size_z
      - .offset:         98
        .size:           2
        .value_kind:     hidden_remainder_x
      - .offset:         100
        .size:           2
        .value_kind:     hidden_remainder_y
      - .offset:         102
        .size:           2
        .value_kind:     hidden_remainder_z
      - .offset:         120
        .size:           8
        .value_kind:     hidden_global_offset_x
      - .offset:         128
        .size:           8
        .value_kind:     hidden_global_offset_y
      - .offset:         136
        .size:           8
        .value_kind:     hidden_global_offset_z
      - .offset:         144
        .size:           2
        .value_kind:     hidden_grid_dims
    .group_segment_fixed_size: 51200
    .kernarg_segment_align: 8
    .kernarg_segment_size: 336
    .language:       OpenCL C
    .language_version:
      - 2
      - 0
    .max_flat_workgroup_size: 1024
    .name:           _ZN7rocprim17ROCPRIM_304000_NS6detail25onesweep_iteration_kernelINS1_34wrapped_radix_sort_onesweep_configINS0_14default_configE12hip_bfloat16N2at4cuda3cub6detail10OpaqueTypeILi8EEEEELb0EPS5_SD_PSB_SE_mNS0_19identity_decomposerEEEvT1_T2_T3_T4_jPT5_SL_PNS1_23onesweep_lookback_stateET6_jjj
    .private_segment_fixed_size: 0
    .sgpr_count:     58
    .sgpr_spill_count: 0
    .symbol:         _ZN7rocprim17ROCPRIM_304000_NS6detail25onesweep_iteration_kernelINS1_34wrapped_radix_sort_onesweep_configINS0_14default_configE12hip_bfloat16N2at4cuda3cub6detail10OpaqueTypeILi8EEEEELb0EPS5_SD_PSB_SE_mNS0_19identity_decomposerEEEvT1_T2_T3_T4_jPT5_SL_PNS1_23onesweep_lookback_stateET6_jjj.kd
    .uniform_work_group_size: 1
    .uses_dynamic_stack: false
    .vgpr_count:     56
    .vgpr_spill_count: 0
    .wavefront_size: 64
amdhsa.target:   amdgcn-amd-amdhsa--gfx942
amdhsa.version:
  - 1
  - 2
...

	.end_amdgpu_metadata
